;; amdgpu-corpus repo=ROCm/hip-tests kind=compiled arch=gfx906 opt=O3
	.amdgcn_target "amdgcn-amd-amdhsa--gfx906"
	.amdhsa_code_object_version 6
	.section	.text._Z6kernelIfEvPSt7complexIT_ES3_S3_8CalcKind,"axG",@progbits,_Z6kernelIfEvPSt7complexIT_ES3_S3_8CalcKind,comdat
	.protected	_Z6kernelIfEvPSt7complexIT_ES3_S3_8CalcKind ; -- Begin function _Z6kernelIfEvPSt7complexIT_ES3_S3_8CalcKind
	.globl	_Z6kernelIfEvPSt7complexIT_ES3_S3_8CalcKind
	.p2align	8
	.type	_Z6kernelIfEvPSt7complexIT_ES3_S3_8CalcKind,@function
_Z6kernelIfEvPSt7complexIT_ES3_S3_8CalcKind: ; @_Z6kernelIfEvPSt7complexIT_ES3_S3_8CalcKind
; %bb.0:
	s_load_dword s0, s[4:5], 0x2c
	s_load_dwordx4 s[8:11], s[4:5], 0x0
	s_load_dwordx2 s[12:13], s[4:5], 0x10
	s_load_dword s18, s[4:5], 0x18
	s_waitcnt lgkmcnt(0)
	s_and_b32 s0, s0, 0xffff
	s_mul_i32 s6, s6, s0
	v_add_u32_e32 v0, s6, v0
	v_ashrrev_i32_e32 v1, 31, v0
	v_lshlrev_b64 v[0:1], 3, v[0:1]
	v_mov_b32_e32 v3, s9
	v_add_co_u32_e32 v2, vcc, s8, v0
	v_addc_co_u32_e32 v3, vcc, v3, v1, vcc
	global_load_dwordx2 v[2:3], v[2:3], off
	s_cmp_lt_i32 s18, 4
	s_cbranch_scc1 .LBB0_6
; %bb.1:
	s_cmp_lt_i32 s18, 6
	s_cbranch_scc1 .LBB0_7
; %bb.2:
	;; [unrolled: 3-line block ×3, first 2 shown]
	s_cmp_eq_u32 s18, 7
	s_waitcnt vmcnt(0)
	v_mov_b32_e32 v5, v3
	v_mov_b32_e32 v4, v2
	s_cbranch_scc0 .LBB0_9
; %bb.4:
	v_and_b32_e32 v5, 0x7fffffff, v2
	s_brev_b32 s0, 18
	v_cmp_nlt_f32_e64 s[6:7], |v2|, s0
	v_lshrrev_b32_e32 v9, 23, v5
                                        ; implicit-def: $vgpr8
                                        ; implicit-def: $vgpr4
	s_and_saveexec_b64 s[0:1], s[6:7]
	s_xor_b64 s[8:9], exec, s[0:1]
	s_cbranch_execz .LBB0_10
; %bb.5:
	v_and_b32_e32 v4, 0x7fffff, v5
	v_or_b32_e32 v4, 0x800000, v4
	s_mov_b32 s0, 0xfe5163ab
	v_mad_u64_u32 v[6:7], s[0:1], v4, s0, 0
	v_mov_b32_e32 v8, 0
	s_mov_b32 s0, 0x3c439041
	v_mad_u64_u32 v[10:11], s[0:1], v4, s0, v[7:8]
	s_mov_b32 s0, 0xdb629599
	v_add_u32_e32 v15, 0xffffff88, v9
	v_mov_b32_e32 v7, v11
	v_mad_u64_u32 v[11:12], s[0:1], v4, s0, v[7:8]
	s_mov_b32 s0, 0xf534ddc0
	v_not_b32_e32 v16, 63
	v_mov_b32_e32 v7, v12
	v_mad_u64_u32 v[12:13], s[0:1], v4, s0, v[7:8]
	s_mov_b32 s0, 0xfc2757d1
	v_cmp_lt_u32_e32 vcc, 63, v15
	v_mov_b32_e32 v7, v13
	v_mad_u64_u32 v[13:14], s[0:1], v4, s0, v[7:8]
	v_cndmask_b32_e32 v7, 0, v16, vcc
	v_add_u32_e32 v16, v7, v15
	v_mov_b32_e32 v7, v14
	s_mov_b32 s0, 0x4e441529
	v_mad_u64_u32 v[14:15], s[0:1], v4, s0, v[7:8]
	v_not_b32_e32 v17, 31
	v_cmp_lt_u32_e64 s[0:1], 31, v16
	v_cndmask_b32_e64 v7, 0, v17, s[0:1]
	v_add_u32_e32 v16, v7, v16
	v_mov_b32_e32 v7, v15
	s_mov_b32 s2, 0xa2f9836e
	v_mad_u64_u32 v[7:8], s[2:3], v4, s2, v[7:8]
	v_cmp_lt_u32_e64 s[2:3], 31, v16
	v_cndmask_b32_e64 v4, 0, v17, s[2:3]
	v_cndmask_b32_e32 v15, v14, v12, vcc
	v_cndmask_b32_e32 v7, v7, v13, vcc
	;; [unrolled: 1-line block ×3, first 2 shown]
	v_add_u32_e32 v4, v4, v16
	v_cndmask_b32_e64 v16, v7, v15, s[0:1]
	v_cndmask_b32_e64 v7, v8, v7, s[0:1]
	v_cndmask_b32_e32 v8, v13, v11, vcc
	v_cndmask_b32_e64 v13, v15, v8, s[0:1]
	v_sub_u32_e32 v15, 32, v4
	v_cmp_eq_u32_e64 s[4:5], 0, v4
	v_cndmask_b32_e32 v4, v12, v10, vcc
	v_cndmask_b32_e64 v7, v7, v16, s[2:3]
	v_cndmask_b32_e64 v14, v16, v13, s[2:3]
	;; [unrolled: 1-line block ×3, first 2 shown]
	v_alignbit_b32 v16, v7, v14, v15
	v_cndmask_b32_e64 v10, v13, v8, s[2:3]
	v_cndmask_b32_e64 v7, v16, v7, s[4:5]
	v_alignbit_b32 v12, v14, v10, v15
	v_cndmask_b32_e32 v6, v11, v6, vcc
	v_cndmask_b32_e64 v12, v12, v14, s[4:5]
	v_bfe_u32 v16, v7, 29, 1
	v_cndmask_b32_e64 v4, v4, v6, s[0:1]
	v_alignbit_b32 v13, v7, v12, 30
	v_sub_u32_e32 v17, 0, v16
	v_cndmask_b32_e64 v4, v8, v4, s[2:3]
	v_xor_b32_e32 v13, v13, v17
	v_alignbit_b32 v6, v10, v4, v15
	v_cndmask_b32_e64 v6, v6, v10, s[4:5]
	v_ffbh_u32_e32 v10, v13
	v_alignbit_b32 v8, v12, v6, 30
	v_min_u32_e32 v10, 32, v10
	v_alignbit_b32 v4, v6, v4, 30
	v_xor_b32_e32 v8, v8, v17
	v_sub_u32_e32 v11, 31, v10
	v_xor_b32_e32 v4, v4, v17
	v_alignbit_b32 v12, v13, v8, v11
	v_alignbit_b32 v4, v8, v4, v11
	;; [unrolled: 1-line block ×3, first 2 shown]
	v_ffbh_u32_e32 v8, v6
	v_min_u32_e32 v8, 32, v8
	v_lshrrev_b32_e32 v14, 29, v7
	v_not_b32_e32 v11, v8
	v_alignbit_b32 v4, v6, v4, v11
	v_lshlrev_b32_e32 v6, 31, v14
	v_or_b32_e32 v11, 0x33000000, v6
	v_add_lshl_u32 v8, v8, v10, 23
	v_lshrrev_b32_e32 v4, 9, v4
	v_sub_u32_e32 v8, v11, v8
	v_or_b32_e32 v6, 0.5, v6
	v_lshlrev_b32_e32 v10, 23, v10
	v_or_b32_e32 v4, v8, v4
	v_lshrrev_b32_e32 v8, 9, v12
	v_sub_u32_e32 v6, v6, v10
	v_or_b32_e32 v6, v8, v6
	s_mov_b32 s0, 0x3fc90fda
	v_mul_f32_e32 v8, 0x3fc90fda, v6
	v_fma_f32 v10, v6, s0, -v8
	v_fmac_f32_e32 v10, 0x33a22168, v6
	v_fmac_f32_e32 v10, 0x3fc90fda, v4
	v_lshrrev_b32_e32 v6, 30, v7
	v_add_f32_e32 v4, v8, v10
	v_add_u32_e32 v8, v16, v6
	s_andn2_saveexec_b64 s[0:1], s[8:9]
	s_cbranch_execz .LBB0_12
	s_branch .LBB0_11
.LBB0_6:
                                        ; implicit-def: $vgpr5
	s_branch .LBB0_35
.LBB0_7:
                                        ; implicit-def: $vgpr5
	s_branch .LBB0_27
.LBB0_8:
                                        ; implicit-def: $vgpr5
	s_branch .LBB0_17
.LBB0_9:
	s_cbranch_execnz .LBB0_26
	s_branch .LBB0_17
.LBB0_10:
	s_andn2_saveexec_b64 s[0:1], s[8:9]
	s_cbranch_execz .LBB0_12
.LBB0_11:
	s_mov_b32 s2, 0x3f22f983
	v_mul_f32_e64 v4, |v2|, s2
	v_rndne_f32_e32 v6, v4
	s_mov_b32 s2, 0xbfc90fda
	v_cvt_i32_f32_e32 v8, v6
	v_fma_f32 v4, v6, s2, |v2|
	v_fmac_f32_e32 v4, 0xb3a22168, v6
	v_fmac_f32_e32 v4, 0xa7c234c4, v6
.LBB0_12:
	s_or_b64 exec, exec, s[0:1]
                                        ; implicit-def: $vgpr6
                                        ; implicit-def: $vgpr7
	s_and_saveexec_b64 s[0:1], s[6:7]
	s_xor_b64 s[6:7], exec, s[0:1]
	s_cbranch_execz .LBB0_14
; %bb.13:
	v_and_b32_e32 v6, 0x7fffff, v5
	v_or_b32_e32 v17, 0x800000, v6
	s_mov_b32 s0, 0xfe5163ab
	v_mad_u64_u32 v[6:7], s[0:1], v17, s0, 0
	v_mov_b32_e32 v11, 0
	s_mov_b32 s0, 0x3c439041
	v_mov_b32_e32 v10, v7
	v_mad_u64_u32 v[12:13], s[0:1], v17, s0, v[10:11]
	s_mov_b32 s0, 0xdb629599
	v_add_u32_e32 v7, 0xffffff88, v9
	v_mov_b32_e32 v10, v13
	v_mad_u64_u32 v[13:14], s[0:1], v17, s0, v[10:11]
	s_mov_b32 s0, 0xf534ddc0
	v_not_b32_e32 v16, 63
	v_mov_b32_e32 v10, v14
	v_mad_u64_u32 v[14:15], s[0:1], v17, s0, v[10:11]
	s_mov_b32 s0, 0xfc2757d1
	v_cmp_lt_u32_e32 vcc, 63, v7
	v_mov_b32_e32 v10, v15
	v_mad_u64_u32 v[9:10], s[0:1], v17, s0, v[10:11]
	v_cndmask_b32_e32 v15, 0, v16, vcc
	s_mov_b32 s0, 0x4e441529
	v_add_u32_e32 v7, v15, v7
	v_mad_u64_u32 v[15:16], s[0:1], v17, s0, v[10:11]
	v_not_b32_e32 v18, 31
	v_cmp_lt_u32_e64 s[0:1], 31, v7
	v_cndmask_b32_e64 v10, 0, v18, s[0:1]
	v_add_u32_e32 v7, v10, v7
	v_mov_b32_e32 v10, v16
	s_mov_b32 s2, 0xa2f9836e
	v_mad_u64_u32 v[10:11], s[2:3], v17, s2, v[10:11]
	v_cmp_lt_u32_e64 s[2:3], 31, v7
	v_cndmask_b32_e64 v16, 0, v18, s[2:3]
	v_add_u32_e32 v7, v16, v7
	v_cndmask_b32_e32 v16, v15, v14, vcc
	v_cndmask_b32_e32 v10, v10, v9, vcc
	;; [unrolled: 1-line block ×4, first 2 shown]
	v_cndmask_b32_e64 v17, v10, v16, s[0:1]
	v_cndmask_b32_e64 v10, v11, v10, s[0:1]
	;; [unrolled: 1-line block ×3, first 2 shown]
	v_sub_u32_e32 v16, 32, v7
	v_cmp_eq_u32_e64 s[4:5], 0, v7
	v_cndmask_b32_e32 v7, v14, v12, vcc
	v_cndmask_b32_e64 v10, v10, v17, s[2:3]
	v_cndmask_b32_e64 v15, v17, v11, s[2:3]
	;; [unrolled: 1-line block ×3, first 2 shown]
	v_alignbit_b32 v17, v10, v15, v16
	v_cndmask_b32_e64 v11, v11, v9, s[2:3]
	v_cndmask_b32_e64 v10, v17, v10, s[4:5]
	v_alignbit_b32 v12, v15, v11, v16
	v_cndmask_b32_e32 v6, v13, v6, vcc
	v_cndmask_b32_e64 v12, v12, v15, s[4:5]
	v_bfe_u32 v17, v10, 29, 1
	v_cndmask_b32_e64 v6, v7, v6, s[0:1]
	v_alignbit_b32 v14, v10, v12, 30
	v_sub_u32_e32 v18, 0, v17
	v_cndmask_b32_e64 v6, v9, v6, s[2:3]
	v_xor_b32_e32 v14, v14, v18
	v_alignbit_b32 v7, v11, v6, v16
	v_cndmask_b32_e64 v7, v7, v11, s[4:5]
	v_ffbh_u32_e32 v11, v14
	v_alignbit_b32 v9, v12, v7, 30
	v_min_u32_e32 v11, 32, v11
	v_alignbit_b32 v6, v7, v6, 30
	v_xor_b32_e32 v9, v9, v18
	v_sub_u32_e32 v12, 31, v11
	v_xor_b32_e32 v6, v6, v18
	v_alignbit_b32 v13, v14, v9, v12
	v_alignbit_b32 v6, v9, v6, v12
	;; [unrolled: 1-line block ×3, first 2 shown]
	v_ffbh_u32_e32 v9, v7
	v_min_u32_e32 v9, 32, v9
	v_lshrrev_b32_e32 v15, 29, v10
	v_not_b32_e32 v12, v9
	v_alignbit_b32 v6, v7, v6, v12
	v_lshlrev_b32_e32 v7, 31, v15
	v_or_b32_e32 v12, 0x33000000, v7
	v_add_lshl_u32 v9, v9, v11, 23
	v_lshrrev_b32_e32 v6, 9, v6
	v_sub_u32_e32 v9, v12, v9
	v_or_b32_e32 v7, 0.5, v7
	v_lshlrev_b32_e32 v11, 23, v11
	v_or_b32_e32 v6, v9, v6
	v_lshrrev_b32_e32 v9, 9, v13
	v_sub_u32_e32 v7, v7, v11
	v_or_b32_e32 v7, v9, v7
	s_mov_b32 s0, 0x3fc90fda
	v_mul_f32_e32 v9, 0x3fc90fda, v7
	v_fma_f32 v11, v7, s0, -v9
	v_fmac_f32_e32 v11, 0x33a22168, v7
	v_fmac_f32_e32 v11, 0x3fc90fda, v6
	v_lshrrev_b32_e32 v6, 30, v10
	v_add_f32_e32 v7, v9, v11
	v_add_u32_e32 v6, v17, v6
	s_andn2_saveexec_b64 s[0:1], s[6:7]
	s_cbranch_execnz .LBB0_15
	s_branch .LBB0_16
.LBB0_14:
	s_andn2_saveexec_b64 s[0:1], s[6:7]
	s_cbranch_execz .LBB0_16
.LBB0_15:
	s_mov_b32 s2, 0x3f22f983
	v_mul_f32_e64 v6, |v2|, s2
	v_rndne_f32_e32 v9, v6
	s_mov_b32 s2, 0xbfc90fda
	v_cvt_i32_f32_e32 v6, v9
	v_fma_f32 v7, v9, s2, |v2|
	v_fmac_f32_e32 v7, 0xb3a22168, v9
	v_fmac_f32_e32 v7, 0xa7c234c4, v9
.LBB0_16:
	s_or_b64 exec, exec, s[0:1]
	v_lshlrev_b32_e32 v9, 30, v8
	v_and_b32_e32 v11, 0x80000000, v9
	v_mul_f32_e32 v13, v4, v4
	v_mov_b32_e32 v9, 0xbab64f3b
	v_and_b32_e32 v12, 1, v8
	v_fmac_f32_e32 v9, 0x37d75334, v13
	v_mov_b32_e32 v8, 0x3d2aabf7
	v_fma_f32 v10, v13, v9, v8
	v_mov_b32_e32 v9, 0xbf000004
	v_fma_f32 v10, v13, v10, v9
	v_mov_b32_e32 v15, 0x3c0881c4
	v_fma_f32 v14, v13, v10, 1.0
	v_fmac_f32_e32 v15, 0xb94c1982, v13
	v_mov_b32_e32 v10, 0xbe2aaa9d
	v_fma_f32 v15, v13, v15, v10
	v_mul_f32_e32 v13, v13, v15
	v_fmac_f32_e32 v4, v4, v13
	v_cmp_eq_u32_e32 vcc, 0, v12
	v_cndmask_b32_e64 v4, -v4, v14, vcc
	s_mov_b32 s1, 0xbf317218
	v_xor_b32_e32 v4, v11, v4
	v_add_f32_e64 v11, |v3|, s1
	v_sub_f32_e64 v12, v11, |v3|
	v_sub_f32_e32 v13, v12, v11
	v_add_f32_e64 v13, |v3|, v13
	v_add_f32_e32 v12, 0x3f317218, v12
	v_sub_f32_e32 v12, v13, v12
	v_add_f32_e32 v12, 0x3102e308, v12
	v_add_f32_e32 v13, v11, v12
	v_sub_f32_e32 v11, v11, v13
	v_add_f32_e32 v11, v12, v11
	v_mul_f32_e32 v12, 0x3fb8aa3b, v13
	v_rndne_f32_e32 v12, v12
	v_fmac_f32_e32 v13, 0xbf317200, v12
	v_add_f32_e32 v14, v11, v13
	v_mul_f32_e32 v15, 0x35bfbc00, v12
	v_sub_f32_e32 v16, v14, v15
	v_sub_f32_e32 v13, v13, v14
	v_add_f32_e32 v11, v11, v13
	v_sub_f32_e32 v13, v14, v16
	v_sub_f32_e32 v13, v13, v15
	v_add_f32_e32 v11, v11, v13
	v_add_f32_e32 v13, v16, v11
	v_mul_f32_e32 v14, 0x2ea39ef3, v12
	v_sub_f32_e32 v15, v13, v14
	v_sub_f32_e32 v16, v16, v13
	v_sub_f32_e32 v13, v13, v15
	v_add_f32_e32 v11, v11, v16
	v_sub_f32_e32 v13, v13, v14
	v_add_f32_e32 v11, v11, v13
	v_add_f32_e32 v13, v15, v11
	v_mov_b32_e32 v14, 0x3c091de6
	v_fmac_f32_e32 v14, 0x3ab42872, v13
	v_mov_b32_e32 v16, 0x3d2aadcc
	v_fmac_f32_e32 v16, v13, v14
	;; [unrolled: 2-line block ×3, first 2 shown]
	v_mov_b32_e32 v16, 0x3efffffc
	v_sub_f32_e32 v15, v15, v13
	v_fmac_f32_e32 v16, v13, v14
	v_mul_f32_e32 v14, v13, v13
	v_add_f32_e32 v11, v11, v15
	v_add_f32_e32 v15, v11, v11
	v_fma_f32 v17, v13, v13, -v14
	v_fmac_f32_e32 v17, v13, v15
	v_add_f32_e32 v15, v14, v17
	v_mul_f32_e32 v18, v16, v15
	v_sub_f32_e32 v14, v15, v14
	v_sub_f32_e32 v14, v17, v14
	v_fma_f32 v15, v15, v16, -v18
	v_fmac_f32_e32 v15, v14, v16
	v_add_f32_e32 v14, v18, v15
	v_add_f32_e32 v16, v13, v14
	v_sub_f32_e32 v17, v14, v18
	v_sub_f32_e32 v15, v15, v17
	v_sub_f32_e32 v13, v16, v13
	v_add_f32_e32 v11, v11, v15
	v_sub_f32_e32 v13, v14, v13
	v_add_f32_e32 v11, v11, v13
	v_add_f32_e32 v13, v16, v11
	v_add_f32_e32 v14, 1.0, v13
	v_sub_f32_e32 v15, v13, v16
	v_sub_f32_e32 v11, v11, v15
	v_add_f32_e32 v15, -1.0, v14
	v_cvt_i32_f32_e32 v12, v12
	v_sub_f32_e32 v13, v13, v15
	v_add_f32_e32 v11, v11, v13
	v_add_f32_e32 v13, v14, v11
	v_ldexp_f32 v15, v13, v12
	v_rcp_f32_e32 v16, v15
	s_movk_i32 s0, 0x1f8
	v_mov_b32_e32 v17, 0x7fc00000
	v_cmp_class_f32_e64 vcc, v2, s0
	v_sub_f32_e32 v13, v13, v14
	v_cndmask_b32_e32 v4, v17, v4, vcc
	v_mul_f32_e32 v17, v15, v16
	v_sub_f32_e32 v11, v11, v13
	v_ldexp_f32 v11, v11, v12
	v_fma_f32 v12, v16, v15, -v17
	v_fmac_f32_e32 v12, v16, v11
	v_add_f32_e32 v13, v17, v12
	v_sub_f32_e32 v14, 1.0, v13
	v_sub_f32_e32 v17, v13, v17
	v_sub_f32_e32 v12, v17, v12
	v_sub_f32_e32 v17, 1.0, v14
	v_sub_f32_e32 v13, v17, v13
	v_add_f32_e32 v12, v12, v13
	v_add_f32_e32 v13, v14, v12
	v_mul_f32_e32 v17, v16, v13
	v_mul_f32_e32 v20, v15, v17
	v_add_f32_e32 v18, v16, v17
	v_fma_f32 v21, v17, v15, -v20
	v_sub_f32_e32 v19, v18, v16
	v_fmac_f32_e32 v21, v17, v11
	v_sub_f32_e32 v19, v17, v19
	v_add_f32_e32 v17, v20, v21
	v_sub_f32_e32 v14, v14, v13
	v_add_f32_e32 v12, v12, v14
	v_sub_f32_e32 v14, v13, v17
	v_sub_f32_e32 v13, v13, v14
	;; [unrolled: 1-line block ×5, first 2 shown]
	v_add_f32_e32 v12, v12, v13
	v_add_f32_e32 v12, v20, v12
	;; [unrolled: 1-line block ×3, first 2 shown]
	v_mul_f32_e32 v12, v16, v12
	v_add_f32_e32 v12, v19, v12
	v_add_f32_e32 v13, v18, v12
	v_ldexp_f32 v14, v13, -2
	v_sub_f32_e32 v13, v13, v18
	v_add_f32_e32 v16, v15, v14
	v_sub_f32_e32 v12, v12, v13
	v_ldexp_f32 v12, v12, -2
	v_sub_f32_e32 v18, v16, v15
	v_add_f32_e32 v13, v11, v12
	v_sub_f32_e32 v18, v14, v18
	s_mov_b32 s0, 0x42b2d4fc
	v_add_f32_e32 v13, v13, v18
	v_add_f32_e32 v13, v16, v13
	v_mov_b32_e32 v16, 0x7f800000
	v_cmp_gt_f32_e64 s[0:1], |v3|, s0
	v_cndmask_b32_e64 v13, v13, v16, s[0:1]
	v_mov_b32_e32 v21, 0xbab64f3b
	v_mul_f32_e32 v4, v13, v4
	v_mul_f32_e32 v13, v7, v7
	v_mov_b32_e32 v17, 0x3c0881c4
	v_fmac_f32_e32 v21, 0x37d75334, v13
	v_fmac_f32_e32 v17, 0xb94c1982, v13
	;; [unrolled: 1-line block ×5, first 2 shown]
	v_mul_f32_e32 v10, v13, v10
	v_fma_f32 v8, v13, v9, 1.0
	v_and_b32_e32 v9, 1, v6
	v_lshlrev_b32_e32 v6, 30, v6
	v_fmac_f32_e32 v7, v7, v10
	v_cmp_eq_u32_e64 s[2:3], 0, v9
	v_and_b32_e32 v6, 0x80000000, v6
	v_cndmask_b32_e64 v7, v8, v7, s[2:3]
	v_xor_b32_e32 v5, v5, v6
	v_xor_b32_e32 v5, v5, v7
	;; [unrolled: 1-line block ×3, first 2 shown]
	v_mov_b32_e32 v6, 0xffc00000
	v_cndmask_b32_e64 v5, v6, -v5, vcc
	v_sub_f32_e32 v6, v15, v14
	v_sub_f32_e32 v7, v15, v6
	;; [unrolled: 1-line block ×3, first 2 shown]
	v_add_f32_e32 v7, v11, v7
	v_sub_f32_e32 v7, v7, v12
	v_add_f32_e32 v6, v6, v7
	v_cndmask_b32_e64 v6, v6, v16, s[0:1]
	s_mov_b32 s0, 0x39800000
	v_cmp_lt_f32_e64 s[0:1], |v3|, s0
	v_cndmask_b32_e64 v6, v6, |v3|, s[0:1]
	s_brev_b32 s0, -2
	v_bfi_b32 v6, s0, v6, v3
	v_mul_f32_e32 v5, v6, v5
	s_cbranch_execnz .LBB0_26
.LBB0_17:
	s_waitcnt vmcnt(0)
	v_and_b32_e32 v4, 0x7fffffff, v2
	s_brev_b32 s0, 18
	v_cmp_nlt_f32_e64 s[6:7], |v2|, s0
	v_lshrrev_b32_e32 v8, 23, v4
                                        ; implicit-def: $vgpr9
                                        ; implicit-def: $vgpr5
	s_and_saveexec_b64 s[0:1], s[6:7]
	s_xor_b64 s[8:9], exec, s[0:1]
	s_cbranch_execz .LBB0_19
; %bb.18:
	v_and_b32_e32 v5, 0x7fffff, v4
	v_or_b32_e32 v15, 0x800000, v5
	s_mov_b32 s0, 0xfe5163ab
	v_mad_u64_u32 v[5:6], s[0:1], v15, s0, 0
	v_mov_b32_e32 v7, 0
	s_mov_b32 s0, 0x3c439041
	v_mad_u64_u32 v[9:10], s[0:1], v15, s0, v[6:7]
	s_mov_b32 s0, 0xdb629599
	v_add_u32_e32 v14, 0xffffff88, v8
	v_mov_b32_e32 v6, v10
	v_mad_u64_u32 v[10:11], s[0:1], v15, s0, v[6:7]
	s_mov_b32 s0, 0xf534ddc0
	v_not_b32_e32 v16, 63
	v_mov_b32_e32 v6, v11
	v_mad_u64_u32 v[11:12], s[0:1], v15, s0, v[6:7]
	s_mov_b32 s0, 0xfc2757d1
	v_cmp_lt_u32_e32 vcc, 63, v14
	v_mov_b32_e32 v6, v12
	v_mad_u64_u32 v[12:13], s[0:1], v15, s0, v[6:7]
	v_cndmask_b32_e32 v6, 0, v16, vcc
	v_add_u32_e32 v16, v6, v14
	v_mov_b32_e32 v6, v13
	s_mov_b32 s0, 0x4e441529
	v_mad_u64_u32 v[13:14], s[0:1], v15, s0, v[6:7]
	v_not_b32_e32 v17, 31
	v_cmp_lt_u32_e64 s[0:1], 31, v16
	v_cndmask_b32_e64 v6, 0, v17, s[0:1]
	v_add_u32_e32 v16, v6, v16
	v_mov_b32_e32 v6, v14
	s_mov_b32 s2, 0xa2f9836e
	v_mad_u64_u32 v[6:7], s[2:3], v15, s2, v[6:7]
	v_cmp_lt_u32_e64 s[2:3], 31, v16
	v_cndmask_b32_e64 v14, 0, v17, s[2:3]
	v_cndmask_b32_e32 v15, v13, v11, vcc
	v_cndmask_b32_e32 v6, v6, v12, vcc
	v_cndmask_b32_e32 v7, v7, v13, vcc
	v_add_u32_e32 v14, v14, v16
	v_cndmask_b32_e64 v16, v6, v15, s[0:1]
	v_cndmask_b32_e64 v6, v7, v6, s[0:1]
	v_cndmask_b32_e32 v7, v12, v10, vcc
	v_cndmask_b32_e64 v12, v15, v7, s[0:1]
	v_cndmask_b32_e32 v9, v11, v9, vcc
	v_cndmask_b32_e64 v6, v6, v16, s[2:3]
	v_cndmask_b32_e64 v13, v16, v12, s[2:3]
	v_sub_u32_e32 v15, 32, v14
	v_cndmask_b32_e64 v7, v7, v9, s[0:1]
	v_alignbit_b32 v16, v6, v13, v15
	v_cmp_eq_u32_e64 s[4:5], 0, v14
	v_cndmask_b32_e64 v11, v12, v7, s[2:3]
	v_cndmask_b32_e64 v6, v16, v6, s[4:5]
	v_alignbit_b32 v12, v13, v11, v15
	v_cndmask_b32_e32 v5, v10, v5, vcc
	v_cndmask_b32_e64 v12, v12, v13, s[4:5]
	v_bfe_u32 v16, v6, 29, 1
	v_cndmask_b32_e64 v5, v9, v5, s[0:1]
	v_alignbit_b32 v13, v6, v12, 30
	v_sub_u32_e32 v17, 0, v16
	v_cndmask_b32_e64 v5, v7, v5, s[2:3]
	v_xor_b32_e32 v13, v13, v17
	v_alignbit_b32 v7, v11, v5, v15
	v_cndmask_b32_e64 v7, v7, v11, s[4:5]
	v_ffbh_u32_e32 v10, v13
	v_alignbit_b32 v9, v12, v7, 30
	v_min_u32_e32 v10, 32, v10
	v_alignbit_b32 v5, v7, v5, 30
	v_xor_b32_e32 v9, v9, v17
	v_sub_u32_e32 v11, 31, v10
	v_xor_b32_e32 v5, v5, v17
	v_alignbit_b32 v12, v13, v9, v11
	v_alignbit_b32 v5, v9, v5, v11
	;; [unrolled: 1-line block ×3, first 2 shown]
	v_ffbh_u32_e32 v9, v7
	v_min_u32_e32 v9, 32, v9
	v_lshrrev_b32_e32 v14, 29, v6
	v_not_b32_e32 v11, v9
	v_alignbit_b32 v5, v7, v5, v11
	v_lshlrev_b32_e32 v7, 31, v14
	v_or_b32_e32 v11, 0x33000000, v7
	v_add_lshl_u32 v9, v9, v10, 23
	v_lshrrev_b32_e32 v5, 9, v5
	v_sub_u32_e32 v9, v11, v9
	v_or_b32_e32 v7, 0.5, v7
	v_lshlrev_b32_e32 v10, 23, v10
	v_or_b32_e32 v5, v9, v5
	v_lshrrev_b32_e32 v9, 9, v12
	v_sub_u32_e32 v7, v7, v10
	v_or_b32_e32 v7, v9, v7
	s_mov_b32 s0, 0x3fc90fda
	v_mul_f32_e32 v9, 0x3fc90fda, v7
	v_fma_f32 v10, v7, s0, -v9
	v_fmac_f32_e32 v10, 0x33a22168, v7
	v_fmac_f32_e32 v10, 0x3fc90fda, v5
	v_lshrrev_b32_e32 v6, 30, v6
	v_add_f32_e32 v5, v9, v10
	v_add_u32_e32 v9, v16, v6
	s_andn2_saveexec_b64 s[0:1], s[8:9]
	s_cbranch_execz .LBB0_21
	s_branch .LBB0_20
.LBB0_19:
	s_andn2_saveexec_b64 s[0:1], s[8:9]
	s_cbranch_execz .LBB0_21
.LBB0_20:
	s_mov_b32 s2, 0x3f22f983
	v_mul_f32_e64 v5, |v2|, s2
	v_rndne_f32_e32 v6, v5
	s_mov_b32 s2, 0xbfc90fda
	v_cvt_i32_f32_e32 v9, v6
	v_fma_f32 v5, v6, s2, |v2|
	v_fmac_f32_e32 v5, 0xb3a22168, v6
	v_fmac_f32_e32 v5, 0xa7c234c4, v6
.LBB0_21:
	s_or_b64 exec, exec, s[0:1]
                                        ; implicit-def: $vgpr6
                                        ; implicit-def: $vgpr7
	s_and_saveexec_b64 s[0:1], s[6:7]
	s_xor_b64 s[6:7], exec, s[0:1]
	s_cbranch_execz .LBB0_23
; %bb.22:
	v_and_b32_e32 v6, 0x7fffff, v4
	v_or_b32_e32 v17, 0x800000, v6
	s_mov_b32 s0, 0xfe5163ab
	v_mad_u64_u32 v[6:7], s[0:1], v17, s0, 0
	v_mov_b32_e32 v11, 0
	s_mov_b32 s0, 0x3c439041
	v_mov_b32_e32 v10, v7
	v_mad_u64_u32 v[12:13], s[0:1], v17, s0, v[10:11]
	s_mov_b32 s0, 0xdb629599
	v_add_u32_e32 v16, 0xffffff88, v8
	v_mov_b32_e32 v10, v13
	v_mad_u64_u32 v[13:14], s[0:1], v17, s0, v[10:11]
	s_mov_b32 s0, 0xf534ddc0
	v_not_b32_e32 v18, 63
	v_mov_b32_e32 v10, v14
	v_mad_u64_u32 v[14:15], s[0:1], v17, s0, v[10:11]
	s_mov_b32 s0, 0xfc2757d1
	v_cmp_lt_u32_e32 vcc, 63, v16
	v_mov_b32_e32 v10, v15
	v_mad_u64_u32 v[7:8], s[0:1], v17, s0, v[10:11]
	v_cndmask_b32_e32 v10, 0, v18, vcc
	v_add_u32_e32 v18, v10, v16
	v_mov_b32_e32 v10, v8
	s_mov_b32 s0, 0x4e441529
	v_mad_u64_u32 v[15:16], s[0:1], v17, s0, v[10:11]
	v_not_b32_e32 v19, 31
	v_cmp_lt_u32_e64 s[0:1], 31, v18
	v_mov_b32_e32 v10, v16
	s_mov_b32 s2, 0xa2f9836e
	v_cndmask_b32_e64 v8, 0, v19, s[0:1]
	v_mad_u64_u32 v[10:11], s[2:3], v17, s2, v[10:11]
	v_add_u32_e32 v8, v8, v18
	v_cmp_lt_u32_e64 s[2:3], 31, v8
	v_cndmask_b32_e64 v16, 0, v19, s[2:3]
	v_add_u32_e32 v8, v16, v8
	v_cndmask_b32_e32 v16, v15, v14, vcc
	v_cndmask_b32_e32 v10, v10, v7, vcc
	;; [unrolled: 1-line block ×4, first 2 shown]
	v_cndmask_b32_e64 v17, v10, v16, s[0:1]
	v_cndmask_b32_e64 v10, v11, v10, s[0:1]
	;; [unrolled: 1-line block ×5, first 2 shown]
	v_sub_u32_e32 v16, 32, v8
	v_alignbit_b32 v17, v10, v15, v16
	v_cmp_eq_u32_e64 s[4:5], 0, v8
	v_cndmask_b32_e64 v8, v17, v10, s[4:5]
	v_cndmask_b32_e32 v10, v14, v12, vcc
	v_cndmask_b32_e64 v7, v7, v10, s[0:1]
	v_cndmask_b32_e64 v11, v11, v7, s[2:3]
	v_alignbit_b32 v12, v15, v11, v16
	v_cndmask_b32_e32 v6, v13, v6, vcc
	v_cndmask_b32_e64 v12, v12, v15, s[4:5]
	v_bfe_u32 v17, v8, 29, 1
	v_cndmask_b32_e64 v6, v10, v6, s[0:1]
	v_alignbit_b32 v14, v8, v12, 30
	v_sub_u32_e32 v18, 0, v17
	v_cndmask_b32_e64 v6, v7, v6, s[2:3]
	v_xor_b32_e32 v14, v14, v18
	v_alignbit_b32 v7, v11, v6, v16
	v_cndmask_b32_e64 v7, v7, v11, s[4:5]
	v_ffbh_u32_e32 v11, v14
	v_alignbit_b32 v10, v12, v7, 30
	v_min_u32_e32 v11, 32, v11
	v_alignbit_b32 v6, v7, v6, 30
	v_xor_b32_e32 v10, v10, v18
	v_sub_u32_e32 v12, 31, v11
	v_xor_b32_e32 v6, v6, v18
	v_alignbit_b32 v13, v14, v10, v12
	v_alignbit_b32 v6, v10, v6, v12
	;; [unrolled: 1-line block ×3, first 2 shown]
	v_ffbh_u32_e32 v10, v7
	v_min_u32_e32 v10, 32, v10
	v_lshrrev_b32_e32 v15, 29, v8
	v_not_b32_e32 v12, v10
	v_alignbit_b32 v6, v7, v6, v12
	v_lshlrev_b32_e32 v7, 31, v15
	v_or_b32_e32 v12, 0x33000000, v7
	v_add_lshl_u32 v10, v10, v11, 23
	v_lshrrev_b32_e32 v6, 9, v6
	v_sub_u32_e32 v10, v12, v10
	v_or_b32_e32 v7, 0.5, v7
	v_lshlrev_b32_e32 v11, 23, v11
	v_or_b32_e32 v6, v10, v6
	v_lshrrev_b32_e32 v10, 9, v13
	v_sub_u32_e32 v7, v7, v11
	v_or_b32_e32 v7, v10, v7
	s_mov_b32 s0, 0x3fc90fda
	v_mul_f32_e32 v10, 0x3fc90fda, v7
	v_fma_f32 v11, v7, s0, -v10
	v_fmac_f32_e32 v11, 0x33a22168, v7
	v_fmac_f32_e32 v11, 0x3fc90fda, v6
	v_lshrrev_b32_e32 v6, 30, v8
	v_add_f32_e32 v7, v10, v11
	v_add_u32_e32 v6, v17, v6
	s_andn2_saveexec_b64 s[0:1], s[6:7]
	s_cbranch_execnz .LBB0_24
	s_branch .LBB0_25
.LBB0_23:
	s_andn2_saveexec_b64 s[0:1], s[6:7]
	s_cbranch_execz .LBB0_25
.LBB0_24:
	s_mov_b32 s2, 0x3f22f983
	v_mul_f32_e64 v6, |v2|, s2
	v_rndne_f32_e32 v8, v6
	s_mov_b32 s2, 0xbfc90fda
	v_cvt_i32_f32_e32 v6, v8
	v_fma_f32 v7, v8, s2, |v2|
	v_fmac_f32_e32 v7, 0xb3a22168, v8
	v_fmac_f32_e32 v7, 0xa7c234c4, v8
.LBB0_25:
	s_or_b64 exec, exec, s[0:1]
	v_mul_f32_e32 v14, v5, v5
	v_mov_b32_e32 v10, 0x3c0881c4
	v_lshlrev_b32_e32 v8, 30, v9
	v_and_b32_e32 v13, 1, v9
	v_fmac_f32_e32 v10, 0xb94c1982, v14
	v_mov_b32_e32 v9, 0xbe2aaa9d
	v_fma_f32 v10, v14, v10, v9
	v_mul_f32_e32 v10, v14, v10
	v_mov_b32_e32 v11, 0xbab64f3b
	v_fmac_f32_e32 v5, v5, v10
	v_fmac_f32_e32 v11, 0x37d75334, v14
	v_mov_b32_e32 v10, 0x3d2aabf7
	v_fma_f32 v15, v14, v11, v10
	v_mov_b32_e32 v11, 0xbf000004
	v_fma_f32 v15, v14, v15, v11
	s_mov_b32 s1, 0xbf317218
	v_fma_f32 v14, v14, v15, 1.0
	v_add_f32_e64 v15, |v3|, s1
	v_sub_f32_e64 v16, v15, |v3|
	v_sub_f32_e32 v17, v16, v15
	v_add_f32_e64 v17, |v3|, v17
	v_add_f32_e32 v16, 0x3f317218, v16
	v_sub_f32_e32 v16, v17, v16
	v_add_f32_e32 v16, 0x3102e308, v16
	v_add_f32_e32 v17, v15, v16
	v_sub_f32_e32 v15, v15, v17
	v_add_f32_e32 v15, v16, v15
	v_mul_f32_e32 v16, 0x3fb8aa3b, v17
	v_rndne_f32_e32 v16, v16
	v_fmac_f32_e32 v17, 0xbf317200, v16
	v_add_f32_e32 v18, v15, v17
	v_mul_f32_e32 v19, 0x35bfbc00, v16
	v_sub_f32_e32 v20, v18, v19
	v_sub_f32_e32 v17, v17, v18
	v_add_f32_e32 v15, v15, v17
	v_sub_f32_e32 v17, v18, v20
	v_sub_f32_e32 v17, v17, v19
	v_add_f32_e32 v15, v15, v17
	v_add_f32_e32 v17, v20, v15
	v_mul_f32_e32 v18, 0x2ea39ef3, v16
	v_sub_f32_e32 v19, v17, v18
	v_sub_f32_e32 v20, v20, v17
	;; [unrolled: 1-line block ×3, first 2 shown]
	v_add_f32_e32 v15, v15, v20
	v_sub_f32_e32 v17, v17, v18
	v_add_f32_e32 v15, v15, v17
	v_add_f32_e32 v17, v19, v15
	v_mov_b32_e32 v18, 0x3c091de6
	v_fmac_f32_e32 v18, 0x3ab42872, v17
	v_mov_b32_e32 v20, 0x3d2aadcc
	v_fmac_f32_e32 v20, v17, v18
	;; [unrolled: 2-line block ×3, first 2 shown]
	v_mov_b32_e32 v20, 0x3efffffc
	v_sub_f32_e32 v19, v19, v17
	v_fmac_f32_e32 v20, v17, v18
	v_mul_f32_e32 v18, v17, v17
	v_add_f32_e32 v15, v15, v19
	v_add_f32_e32 v19, v15, v15
	v_fma_f32 v21, v17, v17, -v18
	v_fmac_f32_e32 v21, v17, v19
	v_add_f32_e32 v19, v18, v21
	v_sub_f32_e32 v18, v19, v18
	v_sub_f32_e32 v18, v21, v18
	v_mul_f32_e32 v21, v20, v19
	v_fma_f32 v19, v19, v20, -v21
	v_fmac_f32_e32 v19, v18, v20
	v_add_f32_e32 v18, v21, v19
	v_add_f32_e32 v20, v17, v18
	v_sub_f32_e32 v21, v18, v21
	v_sub_f32_e32 v19, v19, v21
	;; [unrolled: 1-line block ×3, first 2 shown]
	v_add_f32_e32 v15, v15, v19
	v_sub_f32_e32 v17, v18, v17
	v_add_f32_e32 v15, v15, v17
	v_add_f32_e32 v17, v20, v15
	v_add_f32_e32 v18, 1.0, v17
	v_sub_f32_e32 v19, v17, v20
	v_sub_f32_e32 v15, v15, v19
	v_add_f32_e32 v19, -1.0, v18
	v_cvt_i32_f32_e32 v16, v16
	v_sub_f32_e32 v17, v17, v19
	v_add_f32_e32 v15, v15, v17
	v_add_f32_e32 v17, v18, v15
	v_ldexp_f32 v19, v17, v16
	v_rcp_f32_e32 v20, v19
	v_and_b32_e32 v12, 0x80000000, v8
	v_cmp_eq_u32_e32 vcc, 0, v13
	v_cndmask_b32_e32 v5, v14, v5, vcc
	v_xor_b32_e32 v4, v4, v12
	v_sub_f32_e32 v12, v17, v18
	v_xor_b32_e32 v4, v4, v5
	v_mul_f32_e32 v5, v19, v20
	v_sub_f32_e32 v12, v15, v12
	v_ldexp_f32 v12, v12, v16
	v_fma_f32 v13, v20, v19, -v5
	v_fmac_f32_e32 v13, v20, v12
	v_add_f32_e32 v14, v5, v13
	v_sub_f32_e32 v15, 1.0, v14
	v_sub_f32_e32 v5, v14, v5
	v_sub_f32_e32 v5, v5, v13
	v_sub_f32_e32 v13, 1.0, v15
	v_sub_f32_e32 v13, v13, v14
	v_add_f32_e32 v5, v5, v13
	v_add_f32_e32 v13, v15, v5
	v_mul_f32_e32 v14, v20, v13
	v_mul_f32_e32 v18, v19, v14
	v_add_f32_e32 v16, v20, v14
	v_fma_f32 v21, v14, v19, -v18
	v_sub_f32_e32 v17, v16, v20
	v_fmac_f32_e32 v21, v14, v12
	v_sub_f32_e32 v17, v14, v17
	v_add_f32_e32 v14, v18, v21
	v_sub_f32_e32 v15, v15, v13
	v_add_f32_e32 v5, v5, v15
	v_sub_f32_e32 v15, v13, v14
	v_sub_f32_e32 v13, v13, v15
	;; [unrolled: 1-line block ×5, first 2 shown]
	v_add_f32_e32 v5, v5, v13
	v_add_f32_e32 v5, v18, v5
	;; [unrolled: 1-line block ×3, first 2 shown]
	v_mul_f32_e32 v5, v20, v5
	v_add_f32_e32 v5, v17, v5
	v_add_f32_e32 v13, v16, v5
	v_ldexp_f32 v15, v13, -2
	v_sub_f32_e32 v13, v13, v16
	v_add_f32_e32 v17, v19, v15
	v_sub_f32_e32 v5, v5, v13
	v_ldexp_f32 v5, v5, -2
	v_sub_f32_e32 v16, v17, v19
	s_movk_i32 s0, 0x1f8
	v_add_f32_e32 v13, v12, v5
	v_sub_f32_e32 v16, v15, v16
	v_cmp_class_f32_e64 vcc, v2, s0
	s_mov_b32 s0, 0x42b2d4fc
	v_add_f32_e32 v13, v13, v16
	v_xor_b32_e32 v4, v4, v2
	v_mov_b32_e32 v14, 0x7fc00000
	v_add_f32_e32 v13, v17, v13
	v_mov_b32_e32 v16, 0x7f800000
	v_cmp_gt_f32_e64 s[0:1], |v3|, s0
	v_cndmask_b32_e32 v4, v14, v4, vcc
	v_cndmask_b32_e64 v13, v13, v16, s[0:1]
	v_mov_b32_e32 v8, 0x3c0881c4
	v_mov_b32_e32 v21, 0xbab64f3b
	v_mul_f32_e32 v4, v13, v4
	v_mul_f32_e32 v13, v7, v7
	v_fmac_f32_e32 v8, 0xb94c1982, v13
	v_fmac_f32_e32 v21, 0x37d75334, v13
	;; [unrolled: 1-line block ×4, first 2 shown]
	v_mul_f32_e32 v8, v13, v9
	v_fmac_f32_e32 v11, v13, v10
	v_and_b32_e32 v9, 1, v6
	v_fmac_f32_e32 v7, v7, v8
	v_fma_f32 v8, v13, v11, 1.0
	v_cmp_eq_u32_e64 s[2:3], 0, v9
	v_lshlrev_b32_e32 v6, 30, v6
	v_cndmask_b32_e64 v7, -v7, v8, s[2:3]
	v_and_b32_e32 v6, 0x80000000, v6
	v_xor_b32_e32 v6, v6, v7
	v_sub_f32_e32 v7, v19, v15
	v_sub_f32_e32 v8, v19, v7
	;; [unrolled: 1-line block ×3, first 2 shown]
	v_add_f32_e32 v8, v12, v8
	v_sub_f32_e32 v5, v8, v5
	v_add_f32_e32 v5, v7, v5
	v_cndmask_b32_e64 v5, v5, v16, s[0:1]
	s_mov_b32 s0, 0x39800000
	v_cmp_lt_f32_e64 s[0:1], |v3|, s0
	v_cndmask_b32_e64 v5, v5, |v3|, s[0:1]
	s_brev_b32 s0, -2
	v_cndmask_b32_e32 v6, v14, v6, vcc
	v_bfi_b32 v5, s0, v5, v3
	v_mul_f32_e32 v5, v5, v6
.LBB0_26:
	s_cbranch_execnz .LBB0_34
.LBB0_27:
	s_cmp_gt_i32 s18, 4
	s_cbranch_scc0 .LBB0_29
; %bb.28:
	s_waitcnt vmcnt(0)
	v_max_f32_e64 v4, |v3|, |v3|
	v_max_f32_e64 v5, |v2|, |v2|
	v_min_f32_e32 v6, v5, v4
	v_max_f32_e32 v4, v5, v4
	v_frexp_mant_f32_e32 v5, v4
	v_rcp_f32_e32 v5, v5
	v_frexp_exp_i32_f32_e32 v4, v4
	v_frexp_exp_i32_f32_e32 v7, v6
	v_frexp_mant_f32_e32 v6, v6
	v_mul_f32_e32 v5, v6, v5
	v_sub_u32_e32 v4, v7, v4
	v_ldexp_f32 v4, v5, v4
	v_mul_f32_e32 v5, v4, v4
	v_mov_b32_e32 v6, 0xbc7a590c
	v_fmac_f32_e32 v6, 0x3b2d2a58, v5
	v_mov_b32_e32 v7, 0x3d29fb3f
	v_fmac_f32_e32 v7, v5, v6
	v_mov_b32_e32 v6, 0xbd97d4d7
	v_fmac_f32_e32 v6, v5, v7
	v_mov_b32_e32 v7, 0x3dd931b2
	v_fmac_f32_e32 v7, v5, v6
	v_mov_b32_e32 v6, 0xbe1160e6
	v_fmac_f32_e32 v6, v5, v7
	v_mov_b32_e32 v7, 0x3e4cb8bf
	v_fmac_f32_e32 v7, v5, v6
	v_mov_b32_e32 v6, 0xbeaaaa62
	v_fmac_f32_e32 v6, v5, v7
	v_mul_f32_e32 v5, v5, v6
	v_fmac_f32_e32 v4, v4, v5
	v_sub_f32_e32 v5, 0x3fc90fdb, v4
	v_cmp_gt_f32_e64 vcc, |v3|, |v2|
	v_cndmask_b32_e32 v4, v4, v5, vcc
	v_sub_f32_e32 v5, 0x40490fdb, v4
	v_cmp_gt_f32_e32 vcc, 0, v2
	v_cndmask_b32_e32 v4, v4, v5, vcc
	v_mov_b32_e32 v5, 0x40490fdb
	v_cmp_gt_i32_e64 s[0:1], 0, v2
	v_cndmask_b32_e64 v5, 0, v5, s[0:1]
	v_cmp_eq_f32_e64 s[0:1], 0, v3
	s_movk_i32 s2, 0x204
	v_cndmask_b32_e64 v4, v4, v5, s[0:1]
	v_mov_b32_e32 v5, 0x3f490fdb
	v_mov_b32_e32 v6, 0x4016cbe4
	v_cmp_class_f32_e64 s[0:1], v2, s2
	v_cmp_class_f32_e64 s[2:3], v3, s2
	v_cndmask_b32_e32 v5, v5, v6, vcc
	s_and_b64 vcc, s[0:1], s[2:3]
	v_cndmask_b32_e32 v4, v4, v5, vcc
	v_mov_b32_e32 v5, 0x7fc00000
	v_cmp_o_f32_e32 vcc, v3, v2
	v_cndmask_b32_e32 v4, v5, v4, vcc
	s_brev_b32 s0, -2
	v_bfi_b32 v4, s0, v4, v3
	s_cbranch_execz .LBB0_30
	s_branch .LBB0_33
.LBB0_29:
                                        ; implicit-def: $vgpr4
.LBB0_30:
	s_waitcnt vmcnt(0)
	v_cmp_lt_f32_e64 s[0:1], |v2|, |v3|
	v_cndmask_b32_e64 v4, |v2|, |v3|, s[0:1]
	v_cmp_neq_f32_e32 vcc, 0, v4
	s_and_saveexec_b64 s[2:3], vcc
	s_cbranch_execz .LBB0_32
; %bb.31:
	v_div_scale_f32 v5, s[0:1], v4, v4, v2
	v_div_scale_f32 v6, s[0:1], v4, v4, v3
	v_div_scale_f32 v7, vcc, v2, v4, v2
	v_div_scale_f32 v8, s[0:1], v3, v4, v3
	v_rcp_f32_e32 v9, v5
	v_rcp_f32_e32 v10, v6
	v_fma_f32 v11, -v5, v9, 1.0
	v_fmac_f32_e32 v9, v11, v9
	v_fma_f32 v12, -v6, v10, 1.0
	v_fmac_f32_e32 v10, v12, v10
	v_mul_f32_e32 v11, v7, v9
	v_mul_f32_e32 v12, v8, v10
	v_fma_f32 v13, -v5, v11, v7
	v_fma_f32 v14, -v6, v12, v8
	v_fmac_f32_e32 v11, v13, v9
	v_fmac_f32_e32 v12, v14, v10
	v_fma_f32 v5, -v5, v11, v7
	v_fma_f32 v6, -v6, v12, v8
	v_div_fmas_f32 v5, v5, v9, v11
	s_mov_b64 vcc, s[0:1]
	v_div_fmas_f32 v6, v6, v10, v12
	s_mov_b32 s0, 0xf800000
	v_mov_b32_e32 v7, 0x260
	v_div_fixup_f32 v5, v5, v4, v2
	v_div_fixup_f32 v6, v6, v4, v3
	v_mul_f32_e32 v6, v6, v6
	v_fmac_f32_e32 v6, v5, v5
	v_mul_f32_e32 v5, 0x4f800000, v6
	v_cmp_gt_f32_e32 vcc, s0, v6
	v_cndmask_b32_e32 v5, v6, v5, vcc
	v_sqrt_f32_e32 v6, v5
	v_add_u32_e32 v8, -1, v6
	v_add_u32_e32 v9, 1, v6
	v_fma_f32 v10, -v8, v6, v5
	v_fma_f32 v11, -v9, v6, v5
	v_cmp_ge_f32_e64 s[0:1], 0, v10
	v_cndmask_b32_e64 v6, v6, v8, s[0:1]
	v_cmp_lt_f32_e64 s[0:1], 0, v11
	v_cndmask_b32_e64 v6, v6, v9, s[0:1]
	v_mul_f32_e32 v8, 0x37800000, v6
	v_cndmask_b32_e32 v6, v6, v8, vcc
	v_cmp_class_f32_e32 vcc, v5, v7
	v_cndmask_b32_e32 v5, v6, v5, vcc
	v_mul_f32_e32 v4, v4, v5
.LBB0_32:
	s_or_b64 exec, exec, s[2:3]
.LBB0_33:
	v_mov_b32_e32 v5, 0
.LBB0_34:
	s_cbranch_execnz .LBB0_63
.LBB0_35:
	v_mov_b32_e32 v5, s11
	v_add_co_u32_e32 v4, vcc, s10, v0
	v_addc_co_u32_e32 v5, vcc, v5, v1, vcc
	global_load_dwordx2 v[6:7], v[4:5], off
	s_cmp_lt_i32 s18, 2
	s_cbranch_scc1 .LBB0_52
; %bb.36:
	s_cmp_gt_i32 s18, 2
	s_cbranch_scc0 .LBB0_53
; %bb.37:
	s_waitcnt vmcnt(0)
	v_max_f32_e64 v4, |v7|, |v7|
	v_max_f32_e64 v5, |v6|, |v6|
	v_max_f32_e32 v8, v5, v4
	v_cvt_f64_f32_e32 v[4:5], v8
	s_mov_b32 s0, 0x7f800000
	v_cmp_lg_f32_e32 vcc, s0, v8
	s_movk_i32 s0, 0x1f8
	v_frexp_exp_i32_f64_e32 v4, v[4:5]
	v_mov_b32_e32 v5, 0xff800000
	v_add_u32_e32 v4, -1, v4
	v_cvt_f32_i32_e32 v4, v4
	v_cndmask_b32_e32 v4, v8, v4, vcc
	v_cmp_neq_f32_e32 vcc, 0, v8
	v_cndmask_b32_e32 v10, v5, v4, vcc
	v_cvt_i32_f32_e32 v4, v10
	v_cmp_class_f32_e64 s[0:1], v10, s0
	v_sub_u32_e32 v5, 0, v4
	v_ldexp_f32 v8, v6, v5
	v_ldexp_f32 v5, v7, v5
	v_cndmask_b32_e64 v9, v7, v5, s[0:1]
	v_cndmask_b32_e64 v8, v6, v8, s[0:1]
	v_mul_f32_e32 v11, v9, v9
	v_mul_f32_e32 v5, v3, v9
	;; [unrolled: 1-line block ×3, first 2 shown]
	v_fmac_f32_e32 v11, v8, v8
	v_fmac_f32_e32 v5, v8, v2
	v_fma_f32 v12, v3, v8, -v12
	v_div_scale_f32 v13, s[2:3], v11, v11, v5
	v_div_scale_f32 v14, s[2:3], v11, v11, v12
	v_div_scale_f32 v15, vcc, v5, v11, v5
	v_div_scale_f32 v16, s[2:3], v12, v11, v12
	v_cndmask_b32_e64 v4, 0, v4, s[0:1]
	v_rcp_f32_e32 v17, v13
	v_rcp_f32_e32 v18, v14
	v_fma_f32 v19, -v13, v17, 1.0
	v_fmac_f32_e32 v17, v19, v17
	v_fma_f32 v20, -v14, v18, 1.0
	v_fmac_f32_e32 v18, v20, v18
	v_mul_f32_e32 v19, v15, v17
	v_mul_f32_e32 v20, v16, v18
	v_fma_f32 v21, -v13, v19, v15
	v_fmac_f32_e32 v19, v21, v17
	v_fma_f32 v21, -v14, v20, v16
	v_fmac_f32_e32 v20, v21, v18
	v_fma_f32 v13, -v13, v19, v15
	v_fma_f32 v14, -v14, v20, v16
	v_div_fmas_f32 v13, v13, v17, v19
	s_mov_b64 vcc, s[2:3]
	v_div_fmas_f32 v14, v14, v18, v20
	v_sub_u32_e32 v15, 0, v4
	v_div_fixup_f32 v4, v13, v11, v5
	v_ldexp_f32 v4, v4, v15
	v_div_fixup_f32 v5, v14, v11, v12
	v_ldexp_f32 v5, v5, v15
	v_cmp_u_f32_e32 vcc, v4, v4
	v_cmp_u_f32_e64 s[0:1], v5, v5
	s_and_b64 s[0:1], vcc, s[0:1]
	s_and_saveexec_b64 s[2:3], s[0:1]
	s_cbranch_execz .LBB0_51
; %bb.38:
	v_cmp_neq_f32_e64 s[4:5], 0, v11
	v_cmp_eq_f32_e32 vcc, 0, v11
                                        ; implicit-def: $vgpr11
                                        ; implicit-def: $vgpr12
	s_and_saveexec_b64 s[6:7], vcc
	s_cbranch_execz .LBB0_42
; %bb.39:
	v_cmp_o_f32_e32 vcc, v2, v2
	v_cmp_o_f32_e64 s[0:1], v3, v3
	s_or_b64 s[10:11], vcc, s[0:1]
	s_mov_b64 s[0:1], -1
                                        ; implicit-def: $vgpr11
                                        ; implicit-def: $vgpr12
	s_and_saveexec_b64 s[8:9], s[10:11]
; %bb.40:
	s_brev_b32 s0, -2
	v_mov_b32_e32 v11, 0x7f800000
	v_bfi_b32 v11, s0, v11, v8
	v_mul_f32_e32 v12, v11, v2
	v_mul_f32_e32 v11, v3, v11
	s_xor_b64 s[0:1], exec, -1
; %bb.41:
	s_or_b64 exec, exec, s[8:9]
	s_andn2_b64 s[4:5], s[4:5], exec
	s_and_b64 s[0:1], s[0:1], exec
	s_or_b64 s[4:5], s[4:5], s[0:1]
.LBB0_42:
	s_or_b64 exec, exec, s[6:7]
	s_and_saveexec_b64 s[0:1], s[4:5]
	s_cbranch_execz .LBB0_50
; %bb.43:
	s_movk_i32 s4, 0x204
	v_cmp_class_f32_e64 s[6:7], v2, s4
	v_cmp_class_f32_e64 s[4:5], v3, s4
	s_mov_b32 s10, 0x7f800000
	s_nor_b64 s[8:9], s[6:7], s[4:5]
	v_cmp_nlg_f32_e64 s[14:15], |v8|, s10
	s_or_b64 s[8:9], s[8:9], s[14:15]
	v_cmp_nlg_f32_e64 s[14:15], |v9|, s10
	s_or_b64 s[8:9], s[8:9], s[14:15]
	s_and_saveexec_b64 s[14:15], s[8:9]
	s_xor_b64 s[8:9], exec, s[14:15]
	s_cbranch_execz .LBB0_47
; %bb.44:
	s_movk_i32 s14, 0x1f8
	v_cmp_eq_f32_e32 vcc, s10, v10
	v_cmp_class_f32_e64 s[10:11], v2, s14
	v_cmp_class_f32_e64 s[14:15], v3, s14
	s_and_b64 s[10:11], s[10:11], s[14:15]
	s_and_b64 s[14:15], s[10:11], vcc
	s_and_saveexec_b64 s[10:11], s[14:15]
	s_cbranch_execz .LBB0_46
; %bb.45:
	s_movk_i32 s14, 0x204
	v_mov_b32_e32 v10, 0x3ff00000
	v_cmp_class_f32_e64 vcc, v8, s14
	v_cndmask_b32_e32 v5, 0, v10, vcc
	v_mov_b32_e32 v4, 0
	v_cmp_class_f32_e64 vcc, v9, s14
	v_cvt_f32_f64_e32 v11, v[4:5]
	v_cndmask_b32_e32 v5, 0, v10, vcc
	v_cvt_f32_f64_e32 v4, v[4:5]
	s_brev_b32 s14, -2
	v_bfi_b32 v5, s14, v11, v8
	v_bfi_b32 v8, s14, v4, v9
	v_mul_f32_e32 v4, v3, v8
	v_mul_f32_e32 v8, v2, v8
	v_fmac_f32_e32 v4, v2, v5
	v_fma_f32 v5, v3, v5, -v8
	v_mul_f32_e32 v4, 0, v4
	v_mul_f32_e32 v5, 0, v5
.LBB0_46:
	s_or_b64 exec, exec, s[10:11]
                                        ; implicit-def: $vgpr9
                                        ; implicit-def: $vgpr8
.LBB0_47:
	s_andn2_saveexec_b64 s[8:9], s[8:9]
	s_cbranch_execz .LBB0_49
; %bb.48:
	v_cndmask_b32_e64 v4, 0, 1, s[6:7]
	v_cndmask_b32_e64 v10, 0, 1, s[4:5]
	v_cvt_f64_u32_e32 v[4:5], v4
	v_cvt_f64_u32_e32 v[10:11], v10
	s_brev_b32 s4, -2
	v_cvt_f32_f64_e32 v4, v[4:5]
	v_cvt_f32_f64_e32 v5, v[10:11]
	v_bfi_b32 v4, s4, v4, v2
	v_bfi_b32 v5, s4, v5, v3
	v_mul_f32_e32 v10, v9, v5
	v_mul_f32_e32 v9, v9, v4
	v_fmac_f32_e32 v10, v8, v4
	v_fma_f32 v5, v8, v5, -v9
	v_mul_f32_e32 v4, 0x7f800000, v10
	v_mul_f32_e32 v5, 0x7f800000, v5
.LBB0_49:
	s_or_b64 exec, exec, s[8:9]
	v_mov_b32_e32 v11, v5
	v_mov_b32_e32 v12, v4
.LBB0_50:
	s_or_b64 exec, exec, s[0:1]
	v_mov_b32_e32 v5, v11
	v_mov_b32_e32 v4, v12
.LBB0_51:
	s_or_b64 exec, exec, s[2:3]
	s_cbranch_execz .LBB0_54
	s_branch .LBB0_56
.LBB0_52:
                                        ; implicit-def: $vgpr5
	s_branch .LBB0_57
.LBB0_53:
                                        ; implicit-def: $vgpr5
.LBB0_54:
	s_waitcnt vmcnt(0)
	v_mul_f32_e32 v12, v3, v7
	v_mul_f32_e32 v13, v3, v6
	v_fma_f32 v4, v2, v6, -v12
	v_fma_f32 v5, v2, v7, v13
	v_cmp_u_f32_e32 vcc, v4, v4
	s_and_saveexec_b64 s[6:7], vcc
	s_cbranch_execnz .LBB0_64
.LBB0_55:
	s_or_b64 exec, exec, s[6:7]
.LBB0_56:
	s_cbranch_execnz .LBB0_63
.LBB0_57:
	s_cmp_gt_i32 s18, 0
	s_cbranch_scc0 .LBB0_59
; %bb.58:
	s_waitcnt vmcnt(0)
	v_sub_f32_e32 v4, v2, v6
	v_sub_f32_e32 v5, v3, v7
	s_cbranch_execz .LBB0_60
	s_branch .LBB0_63
.LBB0_59:
                                        ; implicit-def: $vgpr5
.LBB0_60:
	s_cmp_lg_u32 s18, 0
	s_cbranch_scc1 .LBB0_62
; %bb.61:
	s_waitcnt vmcnt(0)
	v_add_f32_e32 v2, v6, v2
	v_add_f32_e32 v3, v3, v7
.LBB0_62:
	s_waitcnt vmcnt(1)
	v_mov_b32_e32 v5, v3
	v_mov_b32_e32 v4, v2
.LBB0_63:
	s_waitcnt vmcnt(0)
	v_mov_b32_e32 v2, s13
	v_add_co_u32_e32 v0, vcc, s12, v0
	v_addc_co_u32_e32 v1, vcc, v2, v1, vcc
	global_store_dwordx2 v[0:1], v[4:5], off
	s_endpgm
.LBB0_64:
	v_cmp_u_f32_e32 vcc, v5, v5
	s_and_saveexec_b64 s[8:9], vcc
	s_cbranch_execnz .LBB0_66
.LBB0_65:
	s_or_b64 exec, exec, s[8:9]
	s_branch .LBB0_55
.LBB0_66:
	s_movk_i32 s10, 0x204
	v_cmp_class_f32_e64 s[4:5], v2, s10
	v_cmp_class_f32_e64 s[0:1], v3, s10
	s_or_b64 s[14:15], s[4:5], s[0:1]
	v_mov_b32_e32 v14, 0
	v_mov_b32_e32 v8, v7
	;; [unrolled: 1-line block ×5, first 2 shown]
	s_and_saveexec_b64 s[2:3], s[14:15]
	s_cbranch_execz .LBB0_70
; %bb.67:
	v_cndmask_b32_e64 v8, 0, 1, s[4:5]
	v_cndmask_b32_e64 v10, 0, 1, s[0:1]
	v_cvt_f64_u32_e32 v[8:9], v8
	v_cvt_f64_u32_e32 v[10:11], v10
	s_brev_b32 s11, -2
	v_cmp_u_f32_e32 vcc, v6, v6
	v_cvt_f32_f64_e32 v9, v[8:9]
	v_cvt_f32_f64_e32 v10, v[10:11]
	v_bfi_b32 v14, s11, 0, v6
	v_cmp_u_f32_e64 s[0:1], v7, v7
	v_mov_b32_e32 v8, v7
	s_and_saveexec_b64 s[4:5], s[0:1]
; %bb.68:
	v_bfi_b32 v8, s11, 0, v7
; %bb.69:
	s_or_b64 exec, exec, s[4:5]
	v_bfi_b32 v11, s11, v9, v2
	v_bfi_b32 v10, s11, v10, v3
	v_cndmask_b32_e32 v9, v6, v14, vcc
	v_mov_b32_e32 v14, 1
.LBB0_70:
	s_or_b64 exec, exec, s[2:3]
	v_cmp_class_f32_e64 s[4:5], v9, s10
	v_cmp_class_f32_e64 s[0:1], v8, s10
	s_or_b64 s[10:11], s[0:1], s[4:5]
	s_and_saveexec_b64 s[2:3], s[10:11]
	s_cbranch_execz .LBB0_74
; %bb.71:
	v_cndmask_b32_e64 v14, 0, 1, s[4:5]
	v_cndmask_b32_e64 v16, 0, 1, s[0:1]
	v_cvt_f64_u32_e32 v[14:15], v14
	v_cvt_f64_u32_e32 v[16:17], v16
	s_brev_b32 s10, -2
	v_cmp_u_f32_e32 vcc, v11, v11
	v_cvt_f32_f64_e32 v14, v[14:15]
	v_cvt_f32_f64_e32 v15, v[16:17]
	v_bfi_b32 v16, s10, 0, v11
	v_cmp_u_f32_e64 s[0:1], v10, v10
	s_and_saveexec_b64 s[4:5], s[0:1]
; %bb.72:
	v_bfi_b32 v10, s10, 0, v10
; %bb.73:
	s_or_b64 exec, exec, s[4:5]
	v_bfi_b32 v9, s10, v14, v9
	v_bfi_b32 v8, s10, v15, v8
	v_cndmask_b32_e32 v11, v11, v16, vcc
	v_mov_b32_e32 v14, 1
.LBB0_74:
	s_or_b64 exec, exec, s[2:3]
	v_cmp_eq_u32_e32 vcc, 0, v14
	s_mov_b64 s[0:1], -1
	s_and_saveexec_b64 s[10:11], vcc
	s_cbranch_execz .LBB0_80
; %bb.75:
	v_mul_f32_e32 v14, v2, v7
	v_mov_b32_e32 v16, 0x204
	v_cmp_class_f32_e32 vcc, v14, v16
	v_cndmask_b32_e64 v14, 0, 1, vcc
	v_cmp_class_f32_e32 vcc, v13, v16
	v_mul_f32_e32 v15, v2, v6
	v_cndmask_b32_e64 v13, 0, 1, vcc
	v_cmp_class_f32_e32 vcc, v12, v16
	v_lshlrev_b16_e32 v14, 2, v14
	v_lshlrev_b16_e32 v13, 3, v13
	v_cndmask_b32_e64 v12, 0, 1, vcc
	v_cmp_class_f32_e32 vcc, v15, v16
	v_or_b32_e32 v13, v13, v14
	v_lshlrev_b16_e32 v12, 1, v12
	v_cndmask_b32_e64 v14, 0, 1, vcc
	v_or_b32_e32 v12, v14, v12
	v_and_b32_e32 v12, 3, v12
	v_or_b32_e32 v12, v12, v13
	v_and_b32_e32 v12, 15, v12
	v_cmp_ne_u16_e32 vcc, 0, v12
	s_mov_b64 s[4:5], 0
	s_and_saveexec_b64 s[14:15], vcc
	s_cbranch_execz .LBB0_79
; %bb.76:
	s_brev_b32 s19, -2
	v_cmp_u_f32_e32 vcc, v11, v11
	v_bfi_b32 v12, s19, 0, v11
	v_cmp_u_f32_e64 s[0:1], v10, v10
	v_bfi_b32 v13, s19, 0, v10
	v_cmp_u_f32_e64 s[2:3], v9, v9
	;; [unrolled: 2-line block ×3, first 2 shown]
	s_and_saveexec_b64 s[16:17], s[4:5]
; %bb.77:
	v_bfi_b32 v8, s19, 0, v8
; %bb.78:
	s_or_b64 exec, exec, s[16:17]
	s_mov_b64 s[4:5], exec
	v_cndmask_b32_e32 v11, v11, v12, vcc
	v_cndmask_b32_e64 v10, v10, v13, s[0:1]
	v_cndmask_b32_e64 v9, v9, v14, s[2:3]
.LBB0_79:
	s_or_b64 exec, exec, s[14:15]
	s_orn2_b64 s[0:1], s[4:5], exec
.LBB0_80:
	s_or_b64 exec, exec, s[10:11]
	s_and_saveexec_b64 s[2:3], s[0:1]
; %bb.81:
	v_mul_f32_e32 v4, v8, v10
	v_mul_f32_e32 v5, v8, v11
	v_fma_f32 v4, v9, v11, -v4
	v_fmac_f32_e32 v5, v9, v10
	v_mul_f32_e32 v4, 0x7f800000, v4
	v_mul_f32_e32 v5, 0x7f800000, v5
; %bb.82:
	s_or_b64 exec, exec, s[2:3]
	s_branch .LBB0_65
	.section	.rodata,"a",@progbits
	.p2align	6, 0x0
	.amdhsa_kernel _Z6kernelIfEvPSt7complexIT_ES3_S3_8CalcKind
		.amdhsa_group_segment_fixed_size 0
		.amdhsa_private_segment_fixed_size 0
		.amdhsa_kernarg_size 288
		.amdhsa_user_sgpr_count 6
		.amdhsa_user_sgpr_private_segment_buffer 1
		.amdhsa_user_sgpr_dispatch_ptr 0
		.amdhsa_user_sgpr_queue_ptr 0
		.amdhsa_user_sgpr_kernarg_segment_ptr 1
		.amdhsa_user_sgpr_dispatch_id 0
		.amdhsa_user_sgpr_flat_scratch_init 0
		.amdhsa_user_sgpr_private_segment_size 0
		.amdhsa_uses_dynamic_stack 0
		.amdhsa_system_sgpr_private_segment_wavefront_offset 0
		.amdhsa_system_sgpr_workgroup_id_x 1
		.amdhsa_system_sgpr_workgroup_id_y 0
		.amdhsa_system_sgpr_workgroup_id_z 0
		.amdhsa_system_sgpr_workgroup_info 0
		.amdhsa_system_vgpr_workitem_id 0
		.amdhsa_next_free_vgpr 22
		.amdhsa_next_free_sgpr 20
		.amdhsa_reserve_vcc 1
		.amdhsa_reserve_flat_scratch 0
		.amdhsa_float_round_mode_32 0
		.amdhsa_float_round_mode_16_64 0
		.amdhsa_float_denorm_mode_32 3
		.amdhsa_float_denorm_mode_16_64 3
		.amdhsa_dx10_clamp 1
		.amdhsa_ieee_mode 1
		.amdhsa_fp16_overflow 0
		.amdhsa_exception_fp_ieee_invalid_op 0
		.amdhsa_exception_fp_denorm_src 0
		.amdhsa_exception_fp_ieee_div_zero 0
		.amdhsa_exception_fp_ieee_overflow 0
		.amdhsa_exception_fp_ieee_underflow 0
		.amdhsa_exception_fp_ieee_inexact 0
		.amdhsa_exception_int_div_zero 0
	.end_amdhsa_kernel
	.section	.text._Z6kernelIfEvPSt7complexIT_ES3_S3_8CalcKind,"axG",@progbits,_Z6kernelIfEvPSt7complexIT_ES3_S3_8CalcKind,comdat
.Lfunc_end0:
	.size	_Z6kernelIfEvPSt7complexIT_ES3_S3_8CalcKind, .Lfunc_end0-_Z6kernelIfEvPSt7complexIT_ES3_S3_8CalcKind
                                        ; -- End function
	.set _Z6kernelIfEvPSt7complexIT_ES3_S3_8CalcKind.num_vgpr, 22
	.set _Z6kernelIfEvPSt7complexIT_ES3_S3_8CalcKind.num_agpr, 0
	.set _Z6kernelIfEvPSt7complexIT_ES3_S3_8CalcKind.numbered_sgpr, 20
	.set _Z6kernelIfEvPSt7complexIT_ES3_S3_8CalcKind.num_named_barrier, 0
	.set _Z6kernelIfEvPSt7complexIT_ES3_S3_8CalcKind.private_seg_size, 0
	.set _Z6kernelIfEvPSt7complexIT_ES3_S3_8CalcKind.uses_vcc, 1
	.set _Z6kernelIfEvPSt7complexIT_ES3_S3_8CalcKind.uses_flat_scratch, 0
	.set _Z6kernelIfEvPSt7complexIT_ES3_S3_8CalcKind.has_dyn_sized_stack, 0
	.set _Z6kernelIfEvPSt7complexIT_ES3_S3_8CalcKind.has_recursion, 0
	.set _Z6kernelIfEvPSt7complexIT_ES3_S3_8CalcKind.has_indirect_call, 0
	.section	.AMDGPU.csdata,"",@progbits
; Kernel info:
; codeLenInByte = 7004
; TotalNumSgprs: 24
; NumVgprs: 22
; ScratchSize: 0
; MemoryBound: 0
; FloatMode: 240
; IeeeMode: 1
; LDSByteSize: 0 bytes/workgroup (compile time only)
; SGPRBlocks: 2
; VGPRBlocks: 5
; NumSGPRsForWavesPerEU: 24
; NumVGPRsForWavesPerEU: 22
; Occupancy: 10
; WaveLimiterHint : 0
; COMPUTE_PGM_RSRC2:SCRATCH_EN: 0
; COMPUTE_PGM_RSRC2:USER_SGPR: 6
; COMPUTE_PGM_RSRC2:TRAP_HANDLER: 0
; COMPUTE_PGM_RSRC2:TGID_X_EN: 1
; COMPUTE_PGM_RSRC2:TGID_Y_EN: 0
; COMPUTE_PGM_RSRC2:TGID_Z_EN: 0
; COMPUTE_PGM_RSRC2:TIDIG_COMP_CNT: 0
	.section	.text._Z6kernelIdEvPSt7complexIT_ES3_S3_8CalcKind,"axG",@progbits,_Z6kernelIdEvPSt7complexIT_ES3_S3_8CalcKind,comdat
	.protected	_Z6kernelIdEvPSt7complexIT_ES3_S3_8CalcKind ; -- Begin function _Z6kernelIdEvPSt7complexIT_ES3_S3_8CalcKind
	.globl	_Z6kernelIdEvPSt7complexIT_ES3_S3_8CalcKind
	.p2align	8
	.type	_Z6kernelIdEvPSt7complexIT_ES3_S3_8CalcKind,@function
_Z6kernelIdEvPSt7complexIT_ES3_S3_8CalcKind: ; @_Z6kernelIdEvPSt7complexIT_ES3_S3_8CalcKind
; %bb.0:
	s_load_dword s0, s[4:5], 0x2c
	s_load_dwordx4 s[8:11], s[4:5], 0x0
	s_load_dwordx2 s[12:13], s[4:5], 0x10
	s_load_dword s26, s[4:5], 0x18
	s_waitcnt lgkmcnt(0)
	s_and_b32 s0, s0, 0xffff
	s_mul_i32 s6, s6, s0
	v_add_u32_e32 v0, s6, v0
	v_ashrrev_i32_e32 v1, 31, v0
	v_lshlrev_b64 v[12:13], 4, v[0:1]
	v_mov_b32_e32 v2, s9
	v_add_co_u32_e32 v0, vcc, s8, v12
	v_addc_co_u32_e32 v1, vcc, v2, v13, vcc
	global_load_dwordx4 v[0:3], v[0:1], off
	s_cmp_lt_i32 s26, 4
	s_cbranch_scc1 .LBB1_6
; %bb.1:
	s_cmp_lt_i32 s26, 6
	s_cbranch_scc1 .LBB1_7
; %bb.2:
	;; [unrolled: 3-line block ×3, first 2 shown]
	s_waitcnt vmcnt(0)
	v_mov_b32_e32 v7, v3
	v_mov_b32_e32 v5, v1
	s_cmp_eq_u32 s26, 7
	v_mov_b32_e32 v6, v2
	v_mov_b32_e32 v4, v0
	s_cbranch_scc0 .LBB1_9
; %bb.4:
	s_mov_b32 s0, 0
	s_mov_b32 s1, 0x41d00000
	v_cmp_nlt_f64_e64 s[2:3], |v[0:1]|, s[0:1]
                                        ; implicit-def: $vgpr18
                                        ; implicit-def: $vgpr4_vgpr5
                                        ; implicit-def: $vgpr16_vgpr17
	s_and_saveexec_b64 s[0:1], s[2:3]
	s_xor_b64 s[4:5], exec, s[0:1]
	s_cbranch_execz .LBB1_10
; %bb.5:
	v_trig_preop_f64 v[4:5], |v[0:1]|, 0
	s_mov_b32 s0, 0
	s_mov_b32 s1, 0x7b000000
	s_movk_i32 s6, 0xff80
	v_ldexp_f64 v[8:9], |v[0:1]|, s6
	v_cmp_ge_f64_e64 vcc, |v[0:1]|, s[0:1]
	v_trig_preop_f64 v[6:7], |v[0:1]|, 1
	v_and_b32_e32 v10, 0x7fffffff, v1
	v_trig_preop_f64 v[18:19], |v[0:1]|, 2
	s_mov_b32 s0, 0
	s_mov_b32 s1, 0x7ff00000
	v_mov_b32_e32 v29, 0x40100000
	v_mov_b32_e32 v28, 0
	v_cndmask_b32_e32 v9, v10, v9, vcc
	v_cndmask_b32_e32 v8, v0, v8, vcc
	s_mov_b32 s6, 0x33145c07
	v_mul_f64 v[10:11], v[4:5], v[8:9]
	s_mov_b32 s7, 0x3c91a626
	v_mul_f64 v[14:15], v[6:7], v[8:9]
	v_mul_f64 v[24:25], v[18:19], v[8:9]
	v_fma_f64 v[4:5], v[4:5], v[8:9], -v[10:11]
	v_fma_f64 v[6:7], v[6:7], v[8:9], -v[14:15]
	;; [unrolled: 1-line block ×3, first 2 shown]
	v_add_f64 v[16:17], v[14:15], v[4:5]
	v_add_f64 v[20:21], v[16:17], -v[14:15]
	v_add_f64 v[26:27], v[10:11], v[16:17]
	v_add_f64 v[22:23], v[16:17], -v[20:21]
	v_add_f64 v[4:5], v[4:5], -v[20:21]
	v_add_f64 v[20:21], v[24:25], v[6:7]
	v_add_f64 v[10:11], v[26:27], -v[10:11]
	v_add_f64 v[14:15], v[14:15], -v[22:23]
	v_ldexp_f64 v[22:23], v[26:27], -2
	v_add_f64 v[30:31], v[20:21], -v[24:25]
	v_add_f64 v[10:11], v[16:17], -v[10:11]
	v_add_f64 v[4:5], v[4:5], v[14:15]
	v_fract_f64_e32 v[14:15], v[22:23]
	v_cmp_neq_f64_e64 vcc, |v[22:23]|, s[0:1]
	v_add_f64 v[6:7], v[6:7], -v[30:31]
	v_add_f64 v[16:17], v[20:21], v[4:5]
	v_ldexp_f64 v[14:15], v[14:15], 2
	v_add_f64 v[22:23], v[10:11], v[16:17]
	v_cndmask_b32_e32 v15, 0, v15, vcc
	v_cndmask_b32_e32 v14, 0, v14, vcc
	v_add_f64 v[32:33], v[16:17], -v[20:21]
	v_add_f64 v[26:27], v[22:23], v[14:15]
	v_add_f64 v[10:11], v[22:23], -v[10:11]
	v_add_f64 v[34:35], v[16:17], -v[32:33]
	;; [unrolled: 1-line block ×3, first 2 shown]
	v_cmp_gt_f64_e32 vcc, 0, v[26:27]
	v_add_f64 v[26:27], v[20:21], -v[30:31]
	v_add_f64 v[10:11], v[16:17], -v[10:11]
	;; [unrolled: 1-line block ×3, first 2 shown]
	v_cndmask_b32_e32 v29, 0, v29, vcc
	v_add_f64 v[14:15], v[14:15], v[28:29]
	v_add_f64 v[26:27], v[24:25], -v[26:27]
	v_add_f64 v[4:5], v[4:5], v[20:21]
	v_add_f64 v[36:37], v[22:23], v[14:15]
	;; [unrolled: 1-line block ×3, first 2 shown]
	v_cvt_i32_f64_e32 v31, v[36:37]
	v_add_f64 v[4:5], v[6:7], v[4:5]
	v_cvt_f64_i32_e32 v[29:30], v31
	v_add_f64 v[14:15], v[14:15], -v[29:30]
	v_add_f64 v[4:5], v[8:9], v[4:5]
	v_add_f64 v[6:7], v[22:23], v[14:15]
	;; [unrolled: 1-line block ×3, first 2 shown]
	v_mov_b32_e32 v10, 0x3ff00000
	v_add_f64 v[8:9], v[6:7], -v[14:15]
	v_cmp_le_f64_e32 vcc, 0.5, v[6:7]
	v_add_f64 v[8:9], v[22:23], -v[8:9]
	v_cndmask_b32_e32 v29, 0, v10, vcc
	v_add_f64 v[6:7], v[6:7], -v[28:29]
	v_addc_co_u32_e64 v18, s[0:1], 0, v31, vcc
	s_mov_b32 s0, 0x54442d18
	s_mov_b32 s1, 0x3ff921fb
	v_add_f64 v[4:5], v[4:5], v[8:9]
	v_add_f64 v[8:9], v[6:7], v[4:5]
	v_mul_f64 v[10:11], v[8:9], s[0:1]
	v_add_f64 v[6:7], v[8:9], -v[6:7]
	v_fma_f64 v[14:15], v[8:9], s[0:1], -v[10:11]
	v_add_f64 v[4:5], v[4:5], -v[6:7]
	v_fma_f64 v[6:7], v[8:9], s[6:7], v[14:15]
	v_fma_f64 v[6:7], v[4:5], s[0:1], v[6:7]
	v_add_f64 v[4:5], v[10:11], v[6:7]
	v_add_f64 v[8:9], v[4:5], -v[10:11]
	v_add_f64 v[16:17], v[6:7], -v[8:9]
	s_andn2_saveexec_b64 s[0:1], s[4:5]
	s_cbranch_execz .LBB1_12
	s_branch .LBB1_11
.LBB1_6:
                                        ; implicit-def: $vgpr6_vgpr7
	s_branch .LBB1_35
.LBB1_7:
                                        ; implicit-def: $vgpr6_vgpr7
	s_branch .LBB1_27
.LBB1_8:
                                        ; implicit-def: $vgpr6_vgpr7
	s_branch .LBB1_17
.LBB1_9:
	s_cbranch_execnz .LBB1_26
	s_branch .LBB1_17
.LBB1_10:
	s_andn2_saveexec_b64 s[0:1], s[4:5]
	s_cbranch_execz .LBB1_12
.LBB1_11:
	s_mov_b32 s4, 0x6dc9c883
	s_mov_b32 s5, 0x3fe45f30
	v_mul_f64 v[4:5], |v[0:1]|, s[4:5]
	s_mov_b32 s4, 0x54442d18
	s_mov_b32 s5, 0xbff921fb
	s_mov_b32 s7, 0xbc91a626
	s_mov_b32 s6, 0x33145c00
	v_rndne_f64_e32 v[6:7], v[4:5]
	v_fma_f64 v[4:5], v[6:7], s[4:5], |v[0:1]|
	v_mul_f64 v[8:9], v[6:7], s[6:7]
	s_mov_b32 s4, 0x252049c0
	s_mov_b32 s5, 0xb97b839a
	v_cvt_i32_f64_e32 v18, v[6:7]
	v_fma_f64 v[16:17], v[6:7], s[6:7], v[4:5]
	v_add_f64 v[10:11], v[4:5], v[8:9]
	s_mov_b32 s7, 0x3c91a626
	v_add_f64 v[14:15], v[4:5], -v[10:11]
	v_add_f64 v[10:11], v[10:11], -v[16:17]
	v_add_f64 v[4:5], v[14:15], v[8:9]
	v_fma_f64 v[8:9], v[6:7], s[6:7], v[8:9]
	v_add_f64 v[4:5], v[10:11], v[4:5]
	v_add_f64 v[4:5], v[4:5], -v[8:9]
	v_fma_f64 v[8:9], v[6:7], s[4:5], v[4:5]
	v_add_f64 v[4:5], v[16:17], v[8:9]
	v_add_f64 v[10:11], v[4:5], -v[16:17]
	v_add_f64 v[16:17], v[8:9], -v[10:11]
.LBB1_12:
	s_or_b64 exec, exec, s[0:1]
                                        ; implicit-def: $vgpr25
                                        ; implicit-def: $vgpr6_vgpr7
                                        ; implicit-def: $vgpr8_vgpr9
	s_and_saveexec_b64 s[0:1], s[2:3]
	s_xor_b64 s[2:3], exec, s[0:1]
	s_cbranch_execz .LBB1_14
; %bb.13:
	v_trig_preop_f64 v[6:7], |v[0:1]|, 0
	s_mov_b32 s0, 0
	s_mov_b32 s1, 0x7b000000
	s_movk_i32 s4, 0xff80
	v_ldexp_f64 v[10:11], |v[0:1]|, s4
	v_cmp_ge_f64_e64 vcc, |v[0:1]|, s[0:1]
	v_trig_preop_f64 v[8:9], |v[0:1]|, 1
	v_and_b32_e32 v14, 0x7fffffff, v1
	v_trig_preop_f64 v[23:24], |v[0:1]|, 2
	s_mov_b32 s0, 0
	s_mov_b32 s1, 0x7ff00000
	v_mov_b32_e32 v34, 0x40100000
	v_mov_b32_e32 v33, 0
	v_cndmask_b32_e32 v11, v14, v11, vcc
	v_cndmask_b32_e32 v10, v0, v10, vcc
	s_mov_b32 s4, 0x33145c07
	v_mul_f64 v[14:15], v[6:7], v[10:11]
	s_mov_b32 s5, 0x3c91a626
	v_mul_f64 v[19:20], v[8:9], v[10:11]
	v_mul_f64 v[29:30], v[23:24], v[10:11]
	v_fma_f64 v[6:7], v[6:7], v[10:11], -v[14:15]
	v_fma_f64 v[8:9], v[8:9], v[10:11], -v[19:20]
	;; [unrolled: 1-line block ×3, first 2 shown]
	v_add_f64 v[21:22], v[19:20], v[6:7]
	v_add_f64 v[25:26], v[21:22], -v[19:20]
	v_add_f64 v[31:32], v[14:15], v[21:22]
	v_add_f64 v[27:28], v[21:22], -v[25:26]
	v_add_f64 v[6:7], v[6:7], -v[25:26]
	v_add_f64 v[25:26], v[29:30], v[8:9]
	v_add_f64 v[14:15], v[31:32], -v[14:15]
	v_add_f64 v[19:20], v[19:20], -v[27:28]
	v_ldexp_f64 v[27:28], v[31:32], -2
	v_add_f64 v[35:36], v[25:26], -v[29:30]
	v_add_f64 v[14:15], v[21:22], -v[14:15]
	v_add_f64 v[6:7], v[6:7], v[19:20]
	v_fract_f64_e32 v[19:20], v[27:28]
	v_cmp_neq_f64_e64 vcc, |v[27:28]|, s[0:1]
	v_add_f64 v[8:9], v[8:9], -v[35:36]
	v_add_f64 v[21:22], v[25:26], v[6:7]
	v_ldexp_f64 v[19:20], v[19:20], 2
	v_add_f64 v[27:28], v[14:15], v[21:22]
	v_cndmask_b32_e32 v20, 0, v20, vcc
	v_cndmask_b32_e32 v19, 0, v19, vcc
	v_add_f64 v[37:38], v[21:22], -v[25:26]
	v_add_f64 v[31:32], v[27:28], v[19:20]
	v_add_f64 v[14:15], v[27:28], -v[14:15]
	v_add_f64 v[39:40], v[21:22], -v[37:38]
	;; [unrolled: 1-line block ×3, first 2 shown]
	v_cmp_gt_f64_e32 vcc, 0, v[31:32]
	v_add_f64 v[31:32], v[25:26], -v[35:36]
	v_add_f64 v[14:15], v[21:22], -v[14:15]
	;; [unrolled: 1-line block ×3, first 2 shown]
	v_cndmask_b32_e32 v34, 0, v34, vcc
	v_add_f64 v[19:20], v[19:20], v[33:34]
	v_add_f64 v[31:32], v[29:30], -v[31:32]
	v_add_f64 v[6:7], v[6:7], v[25:26]
	v_add_f64 v[41:42], v[27:28], v[19:20]
	;; [unrolled: 1-line block ×3, first 2 shown]
	v_cvt_i32_f64_e32 v36, v[41:42]
	v_add_f64 v[6:7], v[8:9], v[6:7]
	v_cvt_f64_i32_e32 v[34:35], v36
	v_add_f64 v[19:20], v[19:20], -v[34:35]
	v_add_f64 v[6:7], v[10:11], v[6:7]
	v_add_f64 v[8:9], v[27:28], v[19:20]
	;; [unrolled: 1-line block ×3, first 2 shown]
	v_mov_b32_e32 v14, 0x3ff00000
	v_add_f64 v[10:11], v[8:9], -v[19:20]
	v_cmp_le_f64_e32 vcc, 0.5, v[8:9]
	v_add_f64 v[10:11], v[27:28], -v[10:11]
	v_cndmask_b32_e32 v34, 0, v14, vcc
	v_add_f64 v[8:9], v[8:9], -v[33:34]
	v_addc_co_u32_e64 v25, s[0:1], 0, v36, vcc
	s_mov_b32 s0, 0x54442d18
	s_mov_b32 s1, 0x3ff921fb
	v_add_f64 v[6:7], v[6:7], v[10:11]
	v_add_f64 v[10:11], v[8:9], v[6:7]
	v_mul_f64 v[14:15], v[10:11], s[0:1]
	v_add_f64 v[8:9], v[10:11], -v[8:9]
	v_fma_f64 v[19:20], v[10:11], s[0:1], -v[14:15]
	v_add_f64 v[6:7], v[6:7], -v[8:9]
	v_fma_f64 v[8:9], v[10:11], s[4:5], v[19:20]
	v_fma_f64 v[8:9], v[6:7], s[0:1], v[8:9]
	v_add_f64 v[6:7], v[14:15], v[8:9]
	v_add_f64 v[10:11], v[6:7], -v[14:15]
	v_add_f64 v[8:9], v[8:9], -v[10:11]
	s_andn2_saveexec_b64 s[0:1], s[2:3]
	s_cbranch_execnz .LBB1_15
	s_branch .LBB1_16
.LBB1_14:
	s_andn2_saveexec_b64 s[0:1], s[2:3]
	s_cbranch_execz .LBB1_16
.LBB1_15:
	s_mov_b32 s2, 0x6dc9c883
	s_mov_b32 s3, 0x3fe45f30
	v_mul_f64 v[6:7], |v[0:1]|, s[2:3]
	s_mov_b32 s2, 0x54442d18
	s_mov_b32 s3, 0xbff921fb
	;; [unrolled: 1-line block ×4, first 2 shown]
	v_rndne_f64_e32 v[10:11], v[6:7]
	v_fma_f64 v[6:7], v[10:11], s[2:3], |v[0:1]|
	v_mul_f64 v[8:9], v[10:11], s[4:5]
	s_mov_b32 s2, 0x252049c0
	s_mov_b32 s3, 0xb97b839a
	v_cvt_i32_f64_e32 v25, v[10:11]
	v_fma_f64 v[21:22], v[10:11], s[4:5], v[6:7]
	v_add_f64 v[14:15], v[6:7], v[8:9]
	s_mov_b32 s5, 0x3c91a626
	v_add_f64 v[19:20], v[6:7], -v[14:15]
	v_add_f64 v[14:15], v[14:15], -v[21:22]
	v_add_f64 v[6:7], v[19:20], v[8:9]
	v_fma_f64 v[8:9], v[10:11], s[4:5], v[8:9]
	v_add_f64 v[6:7], v[14:15], v[6:7]
	v_add_f64 v[6:7], v[6:7], -v[8:9]
	v_fma_f64 v[8:9], v[10:11], s[2:3], v[6:7]
	v_add_f64 v[6:7], v[21:22], v[8:9]
	v_add_f64 v[14:15], v[6:7], -v[21:22]
	v_add_f64 v[8:9], v[8:9], -v[14:15]
.LBB1_16:
	s_or_b64 exec, exec, s[0:1]
	v_mul_f64 v[19:20], v[4:5], v[4:5]
	s_mov_b32 s2, 0x9037ab78
	v_and_b32_e32 v10, 1, v18
	s_mov_b32 s3, 0x3e21eeb6
	v_cmp_eq_u32_e32 vcc, 0, v10
	s_mov_b32 s4, 0x46cc5e42
	v_mov_b32_e32 v11, s3
	s_mov_b32 s5, 0xbda907db
	v_mov_b32_e32 v10, s2
	v_mul_f64 v[14:15], v[19:20], 0.5
	v_fma_f64 v[26:27], v[19:20], s[4:5], v[10:11]
	s_mov_b32 s6, 0xa17f65f6
	s_mov_b32 s7, 0xbe927e4f
	;; [unrolled: 1-line block ×6, first 2 shown]
	v_add_f64 v[21:22], -v[14:15], 1.0
	v_fma_f64 v[26:27], v[19:20], v[26:27], s[6:7]
	s_mov_b32 s22, 0x55555555
	s_mov_b32 s23, 0x3fa55555
	v_mul_f64 v[23:24], v[19:20], v[19:20]
	s_mov_b32 s2, 0xb42fdfa7
	s_mov_b32 s3, 0xbe5ae600
	;; [unrolled: 1-line block ×3, first 2 shown]
	v_add_f64 v[28:29], -v[21:22], 1.0
	v_fma_f64 v[26:27], v[19:20], v[26:27], s[8:9]
	s_mov_b32 s19, 0x3de5e0b2
	s_mov_b32 s24, 0x796cde01
	;; [unrolled: 1-line block ×6, first 2 shown]
	v_add_f64 v[14:15], v[28:29], -v[14:15]
	v_fma_f64 v[26:27], v[19:20], v[26:27], s[16:17]
	s_mov_b32 s21, 0x3f811111
	v_mul_f64 v[28:29], v[16:17], 0.5
	s_mov_b32 s28, 0x8fb9f87e
	s_mov_b32 s29, 0x408633ce
	;; [unrolled: 1-line block ×3, first 2 shown]
	v_mov_b32_e32 v31, 0xfca7ab0c
	v_fma_f64 v[14:15], v[4:5], -v[16:17], v[14:15]
	v_fma_f64 v[26:27], v[19:20], v[26:27], s[22:23]
	v_mov_b32_e32 v32, 0x3e928af3
	s_movk_i32 s0, 0x1f8
	v_cmp_class_f64_e64 s[0:1], v[0:1], s0
	s_brev_b32 s27, -2
	v_fma_f64 v[14:15], v[23:24], v[26:27], v[14:15]
	v_mul_f64 v[23:24], v[4:5], -v[19:20]
	v_add_f64 v[21:22], v[21:22], v[14:15]
	v_mov_b32_e32 v15, s3
	v_mov_b32_e32 v14, s2
	v_fma_f64 v[26:27], v[19:20], s[18:19], v[14:15]
	s_mov_b32 s3, 0xbfc55555
	s_mov_b32 s2, s22
	v_fma_f64 v[26:27], v[19:20], v[26:27], s[24:25]
	v_fma_f64 v[26:27], v[19:20], v[26:27], s[14:15]
	;; [unrolled: 1-line block ×4, first 2 shown]
	v_fma_f64 v[16:17], v[19:20], v[26:27], -v[16:17]
	v_mov_b32_e32 v26, 0x7ff80000
	v_fma_f64 v[16:17], v[23:24], s[2:3], v[16:17]
	v_and_b32_e32 v24, 0x7fffffff, v3
	v_add_f64 v[4:5], v[4:5], -v[16:17]
	v_lshlrev_b32_e32 v16, 30, v18
	v_and_b32_e32 v16, 0x80000000, v16
	v_xor_b32_e32 v5, 0x80000000, v5
	v_cndmask_b32_e32 v4, v4, v21, vcc
	v_cndmask_b32_e32 v5, v5, v22, vcc
	v_cmp_ge_f64_e64 vcc, |v[2:3]|, s[28:29]
	s_mov_b32 s29, 0xbfe62e42
	s_mov_b32 s28, 0xfefa39ef
	v_xor_b32_e32 v5, v5, v16
	v_add_f64 v[16:17], |v[2:3]|, s[28:29]
	s_mov_b32 s30, s28
	s_mov_b32 s28, 0xfefa3000
	v_cndmask_b32_e64 v4, 0, v4, s[0:1]
	v_cndmask_b32_e64 v5, v26, v5, s[0:1]
	v_add_f64 v[18:19], v[16:17], -|v[2:3]|
	v_add_f64 v[20:21], v[18:19], -v[16:17]
	v_add_f64 v[18:19], v[18:19], s[30:31]
	s_mov_b32 s30, 0x3b39803f
	s_mov_b32 s31, 0xbc7abc9e
	v_add_f64 v[20:21], |v[2:3]|, v[20:21]
	v_add_f64 v[18:19], v[20:21], -v[18:19]
	v_add_f64 v[18:19], v[18:19], s[30:31]
	s_mov_b32 s30, 0x652b82fe
	s_mov_b32 s31, 0x3ff71547
	v_add_f64 v[20:21], v[16:17], v[18:19]
	v_add_f64 v[16:17], v[16:17], -v[20:21]
	v_add_f64 v[18:19], v[18:19], v[16:17]
	v_mul_f64 v[16:17], v[20:21], s[30:31]
	v_rndne_f64_e32 v[16:17], v[16:17]
	v_fma_f64 v[20:21], v[16:17], s[28:29], v[20:21]
	s_mov_b32 s28, 0xf278e000
	s_mov_b32 s29, 0xbd53de6a
	v_mul_f64 v[27:28], v[16:17], s[28:29]
	s_mov_b32 s28, 0xf97b57a0
	s_mov_b32 s29, 0xbac9cc01
	v_add_f64 v[22:23], v[18:19], v[20:21]
	v_add_f64 v[29:30], v[22:23], v[27:28]
	v_add_f64 v[20:21], v[20:21], -v[22:23]
	v_add_f64 v[18:19], v[18:19], v[20:21]
	v_add_f64 v[20:21], v[22:23], -v[29:30]
	v_mul_f64 v[22:23], v[16:17], s[28:29]
	s_mov_b32 s28, 0x6a5dcb37
	s_mov_b32 s29, 0x3e5ade15
	v_add_f64 v[20:21], v[20:21], v[27:28]
	v_add_f64 v[18:19], v[18:19], v[20:21]
	;; [unrolled: 1-line block ×4, first 2 shown]
	v_add_f64 v[29:30], v[29:30], -v[20:21]
	v_add_f64 v[20:21], v[20:21], -v[27:28]
	v_add_f64 v[18:19], v[18:19], v[29:30]
	v_add_f64 v[20:21], v[20:21], v[22:23]
	;; [unrolled: 1-line block ×4, first 2 shown]
	v_fma_f64 v[31:32], v[20:21], s[28:29], v[31:32]
	s_mov_b32 s28, 0x623fde64
	s_mov_b32 s29, 0x3ec71dee
	v_add_f64 v[27:28], v[27:28], -v[20:21]
	v_mul_f64 v[22:23], v[20:21], v[20:21]
	v_fma_f64 v[31:32], v[20:21], v[31:32], s[28:29]
	s_mov_b32 s28, 0x7c89e6b0
	s_mov_b32 s29, 0x3efa0199
	v_add_f64 v[18:19], v[18:19], v[27:28]
	v_fma_f64 v[29:30], v[20:21], v[20:21], -v[22:23]
	v_fma_f64 v[31:32], v[20:21], v[31:32], s[28:29]
	s_mov_b32 s28, 0x14761f6e
	s_mov_b32 s29, 0x3f2a01a0
	v_add_f64 v[27:28], v[18:19], v[18:19]
	v_fma_f64 v[31:32], v[20:21], v[31:32], s[28:29]
	s_mov_b32 s28, 0x1852b7b0
	s_mov_b32 s29, 0x3f56c16c
	v_fma_f64 v[27:28], v[20:21], v[27:28], v[29:30]
	v_fma_f64 v[31:32], v[20:21], v[31:32], s[28:29]
	s_mov_b32 s28, 0x11122322
	s_mov_b32 s29, s21
	v_add_f64 v[29:30], v[22:23], v[27:28]
	v_fma_f64 v[31:32], v[20:21], v[31:32], s[28:29]
	s_mov_b32 s28, 0x555502a1
	s_mov_b32 s29, s23
	v_add_f64 v[22:23], v[29:30], -v[22:23]
	v_fma_f64 v[31:32], v[20:21], v[31:32], s[28:29]
	s_mov_b32 s28, 0x55555511
	s_mov_b32 s29, 0x3fc55555
	v_add_f64 v[22:23], v[27:28], -v[22:23]
	v_fma_f64 v[31:32], v[20:21], v[31:32], s[28:29]
	s_mov_b32 s28, 11
	s_mov_b32 s29, 0x3fe00000
	v_fma_f64 v[31:32], v[20:21], v[31:32], s[28:29]
	v_mul_f64 v[33:34], v[29:30], v[31:32]
	v_fma_f64 v[27:28], v[29:30], v[31:32], -v[33:34]
	v_fma_f64 v[22:23], v[22:23], v[31:32], v[27:28]
	v_add_f64 v[27:28], v[33:34], v[22:23]
	v_add_f64 v[29:30], v[20:21], v[27:28]
	v_add_f64 v[31:32], v[27:28], -v[33:34]
	v_cvt_i32_f64_e32 v33, v[16:17]
	v_add_f64 v[20:21], v[29:30], -v[20:21]
	v_add_f64 v[22:23], v[22:23], -v[31:32]
	;; [unrolled: 1-line block ×3, first 2 shown]
	v_add_f64 v[18:19], v[18:19], v[22:23]
	v_add_f64 v[18:19], v[18:19], v[20:21]
	;; [unrolled: 1-line block ×3, first 2 shown]
	v_add_f64 v[22:23], v[20:21], 1.0
	v_add_f64 v[27:28], v[20:21], -v[29:30]
	v_add_f64 v[18:19], v[18:19], -v[27:28]
	v_add_f64 v[27:28], v[22:23], -1.0
	v_add_f64 v[20:21], v[20:21], -v[27:28]
	v_add_f64 v[20:21], v[18:19], v[20:21]
	v_add_f64 v[27:28], v[22:23], v[20:21]
	v_ldexp_f64 v[18:19], v[27:28], v33
	v_rcp_f64_e32 v[16:17], v[18:19]
	v_fma_f64 v[29:30], -v[18:19], v[16:17], 1.0
	v_fma_f64 v[16:17], v[29:30], v[16:17], v[16:17]
	v_fma_f64 v[29:30], -v[18:19], v[16:17], 1.0
	v_fma_f64 v[29:30], v[29:30], v[16:17], v[16:17]
	v_add_f64 v[16:17], v[27:28], -v[22:23]
	v_mul_f64 v[31:32], v[18:19], v[29:30]
	v_add_f64 v[16:17], v[20:21], -v[16:17]
	v_fma_f64 v[20:21], v[29:30], v[18:19], -v[31:32]
	v_ldexp_f64 v[16:17], v[16:17], v33
	v_fma_f64 v[20:21], v[29:30], v[16:17], v[20:21]
	v_add_f64 v[22:23], v[31:32], v[20:21]
	v_add_f64 v[27:28], -v[22:23], 1.0
	v_add_f64 v[31:32], v[22:23], -v[31:32]
	v_add_f64 v[20:21], v[31:32], -v[20:21]
	v_add_f64 v[31:32], -v[27:28], 1.0
	v_add_f64 v[22:23], v[31:32], -v[22:23]
	v_add_f64 v[20:21], v[20:21], v[22:23]
	v_add_f64 v[22:23], v[27:28], v[20:21]
	v_mul_f64 v[31:32], v[29:30], v[22:23]
	v_add_f64 v[27:28], v[27:28], -v[22:23]
	v_add_f64 v[33:34], v[29:30], v[31:32]
	v_mul_f64 v[37:38], v[18:19], v[31:32]
	v_add_f64 v[20:21], v[20:21], v[27:28]
	v_add_f64 v[35:36], v[33:34], -v[29:30]
	v_fma_f64 v[39:40], v[31:32], v[18:19], -v[37:38]
	v_add_f64 v[35:36], v[31:32], -v[35:36]
	v_fma_f64 v[31:32], v[31:32], v[16:17], v[39:40]
	v_add_f64 v[39:40], v[37:38], v[31:32]
	v_add_f64 v[41:42], v[22:23], -v[39:40]
	v_add_f64 v[37:38], v[39:40], -v[37:38]
	;; [unrolled: 1-line block ×5, first 2 shown]
	v_add_f64 v[20:21], v[20:21], v[22:23]
	v_add_f64 v[20:21], v[31:32], v[20:21]
	;; [unrolled: 1-line block ×3, first 2 shown]
	v_mul_f64 v[20:21], v[29:30], v[20:21]
	v_add_f64 v[20:21], v[35:36], v[20:21]
	v_add_f64 v[27:28], v[33:34], v[20:21]
	v_ldexp_f64 v[22:23], v[27:28], -2
	v_add_f64 v[27:28], v[27:28], -v[33:34]
	v_add_f64 v[29:30], v[18:19], v[22:23]
	v_add_f64 v[20:21], v[20:21], -v[27:28]
	v_add_f64 v[31:32], v[29:30], -v[18:19]
	v_ldexp_f64 v[20:21], v[20:21], -2
	v_add_f64 v[31:32], v[22:23], -v[31:32]
	v_add_f64 v[27:28], v[16:17], v[20:21]
	v_add_f64 v[27:28], v[27:28], v[31:32]
	v_add_f64 v[28:29], v[29:30], v[27:28]
	v_mov_b32_e32 v27, 0x7ff00000
	v_cndmask_b32_e32 v29, v29, v27, vcc
	v_cndmask_b32_e64 v28, v28, 0, vcc
	v_mul_f64 v[4:5], v[28:29], v[4:5]
	v_mul_f64 v[28:29], v[6:7], v[6:7]
	v_mul_f64 v[30:31], v[28:29], 0.5
	v_fma_f64 v[10:11], v[28:29], s[4:5], v[10:11]
	v_fma_f64 v[14:15], v[28:29], s[18:19], v[14:15]
	v_add_f64 v[32:33], -v[30:31], 1.0
	v_fma_f64 v[10:11], v[28:29], v[10:11], s[6:7]
	v_fma_f64 v[14:15], v[28:29], v[14:15], s[24:25]
	v_add_f64 v[34:35], -v[32:33], 1.0
	v_fma_f64 v[10:11], v[28:29], v[10:11], s[8:9]
	v_fma_f64 v[14:15], v[28:29], v[14:15], s[14:15]
	v_add_f64 v[30:31], v[34:35], -v[30:31]
	v_fma_f64 v[10:11], v[28:29], v[10:11], s[16:17]
	v_mul_f64 v[34:35], v[28:29], v[28:29]
	v_fma_f64 v[14:15], v[28:29], v[14:15], s[20:21]
	v_fma_f64 v[30:31], v[6:7], -v[8:9], v[30:31]
	v_fma_f64 v[10:11], v[28:29], v[10:11], s[22:23]
	v_fma_f64 v[10:11], v[34:35], v[10:11], v[30:31]
	v_mul_f64 v[30:31], v[6:7], -v[28:29]
	v_add_f64 v[10:11], v[32:33], v[10:11]
	v_mul_f64 v[32:33], v[8:9], 0.5
	v_fma_f64 v[14:15], v[30:31], v[14:15], v[32:33]
	v_fma_f64 v[8:9], v[28:29], v[14:15], -v[8:9]
	v_fma_f64 v[8:9], v[30:31], s[2:3], v[8:9]
	v_add_f64 v[6:7], v[6:7], -v[8:9]
	v_and_b32_e32 v8, 1, v25
	v_cmp_eq_u32_e64 s[2:3], 0, v8
	v_lshlrev_b32_e32 v8, 30, v25
	v_xor_b32_e32 v8, v8, v1
	v_and_b32_e32 v8, 0x80000000, v8
	v_cndmask_b32_e64 v7, v11, v7, s[2:3]
	v_xor_b32_e32 v7, v7, v8
	v_add_f64 v[8:9], v[18:19], -v[22:23]
	v_cndmask_b32_e64 v6, v10, v6, s[2:3]
	v_cndmask_b32_e64 v6, 0, v6, s[0:1]
	;; [unrolled: 1-line block ×3, first 2 shown]
	s_mov_b32 s0, 0
	s_mov_b32 s1, 0x3e400000
	v_add_f64 v[10:11], v[18:19], -v[8:9]
	v_add_f64 v[10:11], v[10:11], -v[22:23]
	v_add_f64 v[10:11], v[16:17], v[10:11]
	v_add_f64 v[10:11], v[10:11], -v[20:21]
	v_add_f64 v[8:9], v[8:9], v[10:11]
	v_cndmask_b32_e32 v9, v9, v27, vcc
	v_cndmask_b32_e64 v8, v8, 0, vcc
	v_cmp_lt_f64_e64 vcc, |v[2:3]|, s[0:1]
	v_cndmask_b32_e32 v9, v9, v24, vcc
	v_cndmask_b32_e32 v8, v8, v2, vcc
	v_bfi_b32 v9, s27, v9, v3
	v_mul_f64 v[6:7], v[8:9], -v[6:7]
	s_cbranch_execnz .LBB1_26
.LBB1_17:
	s_waitcnt vmcnt(0)
	v_trig_preop_f64 v[18:19], |v[0:1]|, 0
	v_trig_preop_f64 v[10:11], |v[0:1]|, 1
	v_trig_preop_f64 v[4:5], |v[0:1]|, 2
	s_mov_b32 s0, 0
	s_mov_b32 s1, 0x41d00000
	v_cmp_nlt_f64_e64 s[2:3], |v[0:1]|, s[0:1]
                                        ; implicit-def: $vgpr20
                                        ; implicit-def: $vgpr14_vgpr15
                                        ; implicit-def: $vgpr16_vgpr17
	s_and_saveexec_b64 s[0:1], s[2:3]
	s_xor_b64 s[4:5], exec, s[0:1]
	s_cbranch_execz .LBB1_19
; %bb.18:
	s_mov_b32 s0, 0
	s_mov_b32 s1, 0x7b000000
	s_movk_i32 s6, 0xff80
	v_ldexp_f64 v[6:7], |v[0:1]|, s6
	v_cmp_ge_f64_e64 vcc, |v[0:1]|, s[0:1]
	v_and_b32_e32 v8, 0x7fffffff, v1
	s_mov_b32 s0, 0
	s_mov_b32 s1, 0x7ff00000
	v_mov_b32_e32 v33, 0x40100000
	v_mov_b32_e32 v32, 0
	s_mov_b32 s6, 0x33145c07
	s_mov_b32 s7, 0x3c91a626
	v_cndmask_b32_e32 v7, v8, v7, vcc
	v_cndmask_b32_e32 v6, v0, v6, vcc
	v_mul_f64 v[8:9], v[18:19], v[6:7]
	v_mul_f64 v[14:15], v[10:11], v[6:7]
	;; [unrolled: 1-line block ×3, first 2 shown]
	v_fma_f64 v[16:17], v[18:19], v[6:7], -v[8:9]
	v_fma_f64 v[28:29], v[10:11], v[6:7], -v[14:15]
	;; [unrolled: 1-line block ×3, first 2 shown]
	v_add_f64 v[20:21], v[14:15], v[16:17]
	v_add_f64 v[22:23], v[20:21], -v[14:15]
	v_add_f64 v[30:31], v[8:9], v[20:21]
	v_add_f64 v[24:25], v[20:21], -v[22:23]
	v_add_f64 v[16:17], v[16:17], -v[22:23]
	v_add_f64 v[22:23], v[26:27], v[28:29]
	v_add_f64 v[8:9], v[30:31], -v[8:9]
	v_add_f64 v[14:15], v[14:15], -v[24:25]
	v_ldexp_f64 v[24:25], v[30:31], -2
	v_add_f64 v[34:35], v[22:23], -v[26:27]
	v_add_f64 v[8:9], v[20:21], -v[8:9]
	v_add_f64 v[14:15], v[16:17], v[14:15]
	v_fract_f64_e32 v[16:17], v[24:25]
	v_cmp_neq_f64_e64 vcc, |v[24:25]|, s[0:1]
	v_add_f64 v[28:29], v[28:29], -v[34:35]
	v_add_f64 v[20:21], v[22:23], v[14:15]
	v_ldexp_f64 v[16:17], v[16:17], 2
	v_add_f64 v[24:25], v[8:9], v[20:21]
	v_cndmask_b32_e32 v17, 0, v17, vcc
	v_cndmask_b32_e32 v16, 0, v16, vcc
	v_add_f64 v[36:37], v[20:21], -v[22:23]
	v_add_f64 v[30:31], v[24:25], v[16:17]
	v_add_f64 v[8:9], v[24:25], -v[8:9]
	v_add_f64 v[38:39], v[20:21], -v[36:37]
	v_add_f64 v[14:15], v[14:15], -v[36:37]
	v_cmp_gt_f64_e32 vcc, 0, v[30:31]
	v_add_f64 v[30:31], v[22:23], -v[34:35]
	v_add_f64 v[8:9], v[20:21], -v[8:9]
	;; [unrolled: 1-line block ×3, first 2 shown]
	v_cndmask_b32_e32 v33, 0, v33, vcc
	v_add_f64 v[16:17], v[16:17], v[32:33]
	v_add_f64 v[30:31], v[26:27], -v[30:31]
	v_add_f64 v[14:15], v[14:15], v[22:23]
	v_add_f64 v[40:41], v[24:25], v[16:17]
	;; [unrolled: 1-line block ×3, first 2 shown]
	v_cvt_i32_f64_e32 v35, v[40:41]
	v_add_f64 v[14:15], v[28:29], v[14:15]
	v_cvt_f64_i32_e32 v[33:34], v35
	v_add_f64 v[16:17], v[16:17], -v[33:34]
	v_add_f64 v[6:7], v[6:7], v[14:15]
	v_add_f64 v[22:23], v[24:25], v[16:17]
	;; [unrolled: 1-line block ×3, first 2 shown]
	v_add_f64 v[14:15], v[22:23], -v[16:17]
	v_cmp_le_f64_e32 vcc, 0.5, v[22:23]
	v_add_f64 v[8:9], v[24:25], -v[14:15]
	v_mov_b32_e32 v14, 0x3ff00000
	v_cndmask_b32_e32 v33, 0, v14, vcc
	v_addc_co_u32_e64 v20, s[0:1], 0, v35, vcc
	s_mov_b32 s0, 0x54442d18
	s_mov_b32 s1, 0x3ff921fb
	v_add_f64 v[6:7], v[6:7], v[8:9]
	v_add_f64 v[8:9], v[22:23], -v[32:33]
	v_add_f64 v[14:15], v[8:9], v[6:7]
	v_mul_f64 v[16:17], v[14:15], s[0:1]
	v_add_f64 v[8:9], v[14:15], -v[8:9]
	v_fma_f64 v[21:22], v[14:15], s[0:1], -v[16:17]
	v_add_f64 v[6:7], v[6:7], -v[8:9]
	v_fma_f64 v[8:9], v[14:15], s[6:7], v[21:22]
	v_fma_f64 v[6:7], v[6:7], s[0:1], v[8:9]
	v_add_f64 v[14:15], v[16:17], v[6:7]
	v_add_f64 v[8:9], v[14:15], -v[16:17]
	v_add_f64 v[16:17], v[6:7], -v[8:9]
	s_andn2_saveexec_b64 s[0:1], s[4:5]
	s_cbranch_execz .LBB1_21
	s_branch .LBB1_20
.LBB1_19:
	s_andn2_saveexec_b64 s[0:1], s[4:5]
	s_cbranch_execz .LBB1_21
.LBB1_20:
	s_mov_b32 s4, 0x6dc9c883
	s_mov_b32 s5, 0x3fe45f30
	v_mul_f64 v[6:7], |v[0:1]|, s[4:5]
	s_mov_b32 s4, 0x54442d18
	s_mov_b32 s5, 0xbff921fb
	;; [unrolled: 1-line block ×4, first 2 shown]
	v_rndne_f64_e32 v[6:7], v[6:7]
	v_fma_f64 v[8:9], v[6:7], s[4:5], |v[0:1]|
	v_mul_f64 v[14:15], v[6:7], s[6:7]
	s_mov_b32 s4, 0x252049c0
	s_mov_b32 s5, 0xb97b839a
	v_add_f64 v[16:17], v[8:9], v[14:15]
	v_add_f64 v[20:21], v[8:9], -v[16:17]
	v_fma_f64 v[8:9], v[6:7], s[6:7], v[8:9]
	s_mov_b32 s7, 0x3c91a626
	v_add_f64 v[20:21], v[20:21], v[14:15]
	v_add_f64 v[16:17], v[16:17], -v[8:9]
	v_fma_f64 v[14:15], v[6:7], s[6:7], v[14:15]
	v_add_f64 v[16:17], v[16:17], v[20:21]
	v_cvt_i32_f64_e32 v20, v[6:7]
	v_add_f64 v[14:15], v[16:17], -v[14:15]
	v_fma_f64 v[16:17], v[6:7], s[4:5], v[14:15]
	v_add_f64 v[14:15], v[8:9], v[16:17]
	v_add_f64 v[8:9], v[14:15], -v[8:9]
	v_add_f64 v[16:17], v[16:17], -v[8:9]
.LBB1_21:
	s_or_b64 exec, exec, s[0:1]
                                        ; implicit-def: $vgpr27
                                        ; implicit-def: $vgpr6_vgpr7
                                        ; implicit-def: $vgpr8_vgpr9
	s_and_saveexec_b64 s[0:1], s[2:3]
	s_xor_b64 s[2:3], exec, s[0:1]
	s_cbranch_execz .LBB1_23
; %bb.22:
	s_mov_b32 s0, 0
	s_mov_b32 s1, 0x7b000000
	s_movk_i32 s4, 0xff80
	v_ldexp_f64 v[6:7], |v[0:1]|, s4
	v_cmp_ge_f64_e64 vcc, |v[0:1]|, s[0:1]
	v_and_b32_e32 v8, 0x7fffffff, v1
	s_mov_b32 s0, 0
	s_mov_b32 s1, 0x7ff00000
	v_mov_b32_e32 v34, 0x40100000
	v_mov_b32_e32 v33, 0
	s_mov_b32 s4, 0x33145c07
	s_mov_b32 s5, 0x3c91a626
	v_cndmask_b32_e32 v7, v8, v7, vcc
	v_cndmask_b32_e32 v6, v0, v6, vcc
	v_mul_f64 v[8:9], v[18:19], v[6:7]
	v_mul_f64 v[21:22], v[10:11], v[6:7]
	;; [unrolled: 1-line block ×3, first 2 shown]
	v_fma_f64 v[18:19], v[18:19], v[6:7], -v[8:9]
	v_fma_f64 v[10:11], v[10:11], v[6:7], -v[21:22]
	;; [unrolled: 1-line block ×3, first 2 shown]
	v_add_f64 v[23:24], v[21:22], v[18:19]
	v_add_f64 v[25:26], v[23:24], -v[21:22]
	v_add_f64 v[31:32], v[8:9], v[23:24]
	v_add_f64 v[27:28], v[23:24], -v[25:26]
	v_add_f64 v[18:19], v[18:19], -v[25:26]
	v_add_f64 v[25:26], v[29:30], v[10:11]
	v_add_f64 v[8:9], v[31:32], -v[8:9]
	v_add_f64 v[21:22], v[21:22], -v[27:28]
	v_ldexp_f64 v[27:28], v[31:32], -2
	v_add_f64 v[35:36], v[25:26], -v[29:30]
	v_add_f64 v[8:9], v[23:24], -v[8:9]
	v_add_f64 v[18:19], v[18:19], v[21:22]
	v_fract_f64_e32 v[21:22], v[27:28]
	v_cmp_neq_f64_e64 vcc, |v[27:28]|, s[0:1]
	v_add_f64 v[10:11], v[10:11], -v[35:36]
	v_add_f64 v[23:24], v[25:26], v[18:19]
	v_ldexp_f64 v[21:22], v[21:22], 2
	v_add_f64 v[27:28], v[8:9], v[23:24]
	v_cndmask_b32_e32 v22, 0, v22, vcc
	v_cndmask_b32_e32 v21, 0, v21, vcc
	v_add_f64 v[37:38], v[23:24], -v[25:26]
	v_add_f64 v[31:32], v[27:28], v[21:22]
	v_add_f64 v[6:7], v[27:28], -v[8:9]
	v_add_f64 v[39:40], v[23:24], -v[37:38]
	;; [unrolled: 1-line block ×3, first 2 shown]
	v_cmp_gt_f64_e32 vcc, 0, v[31:32]
	v_add_f64 v[31:32], v[25:26], -v[35:36]
	v_add_f64 v[6:7], v[23:24], -v[6:7]
	;; [unrolled: 1-line block ×3, first 2 shown]
	v_cndmask_b32_e32 v34, 0, v34, vcc
	v_add_f64 v[21:22], v[21:22], v[33:34]
	v_add_f64 v[31:32], v[29:30], -v[31:32]
	v_add_f64 v[18:19], v[18:19], v[25:26]
	v_add_f64 v[41:42], v[27:28], v[21:22]
	;; [unrolled: 1-line block ×3, first 2 shown]
	v_cvt_i32_f64_e32 v36, v[41:42]
	v_add_f64 v[8:9], v[10:11], v[18:19]
	v_cvt_f64_i32_e32 v[34:35], v36
	v_add_f64 v[21:22], v[21:22], -v[34:35]
	v_add_f64 v[4:5], v[4:5], v[8:9]
	v_add_f64 v[10:11], v[27:28], v[21:22]
	;; [unrolled: 1-line block ×3, first 2 shown]
	v_add_f64 v[8:9], v[10:11], -v[21:22]
	v_cmp_le_f64_e32 vcc, 0.5, v[10:11]
	v_add_f64 v[6:7], v[27:28], -v[8:9]
	v_mov_b32_e32 v8, 0x3ff00000
	v_cndmask_b32_e32 v34, 0, v8, vcc
	v_addc_co_u32_e64 v27, s[0:1], 0, v36, vcc
	s_mov_b32 s0, 0x54442d18
	s_mov_b32 s1, 0x3ff921fb
	v_add_f64 v[4:5], v[4:5], v[6:7]
	v_add_f64 v[6:7], v[10:11], -v[33:34]
	v_add_f64 v[8:9], v[6:7], v[4:5]
	v_mul_f64 v[10:11], v[8:9], s[0:1]
	v_add_f64 v[6:7], v[8:9], -v[6:7]
	v_fma_f64 v[18:19], v[8:9], s[0:1], -v[10:11]
	v_add_f64 v[4:5], v[4:5], -v[6:7]
	v_fma_f64 v[6:7], v[8:9], s[4:5], v[18:19]
	v_fma_f64 v[4:5], v[4:5], s[0:1], v[6:7]
	v_add_f64 v[6:7], v[10:11], v[4:5]
	v_add_f64 v[8:9], v[6:7], -v[10:11]
	v_add_f64 v[8:9], v[4:5], -v[8:9]
	s_andn2_saveexec_b64 s[0:1], s[2:3]
	s_cbranch_execnz .LBB1_24
	s_branch .LBB1_25
.LBB1_23:
	s_andn2_saveexec_b64 s[0:1], s[2:3]
	s_cbranch_execz .LBB1_25
.LBB1_24:
	s_mov_b32 s2, 0x6dc9c883
	s_mov_b32 s3, 0x3fe45f30
	v_mul_f64 v[4:5], |v[0:1]|, s[2:3]
	s_mov_b32 s2, 0x54442d18
	s_mov_b32 s3, 0xbff921fb
	;; [unrolled: 1-line block ×4, first 2 shown]
	v_rndne_f64_e32 v[4:5], v[4:5]
	v_fma_f64 v[6:7], v[4:5], s[2:3], |v[0:1]|
	v_mul_f64 v[8:9], v[4:5], s[4:5]
	s_mov_b32 s2, 0x252049c0
	s_mov_b32 s3, 0xb97b839a
	v_cvt_i32_f64_e32 v27, v[4:5]
	v_fma_f64 v[21:22], v[4:5], s[4:5], v[6:7]
	v_add_f64 v[10:11], v[6:7], v[8:9]
	s_mov_b32 s5, 0x3c91a626
	v_add_f64 v[18:19], v[6:7], -v[10:11]
	v_add_f64 v[10:11], v[10:11], -v[21:22]
	v_add_f64 v[6:7], v[18:19], v[8:9]
	v_fma_f64 v[8:9], v[4:5], s[4:5], v[8:9]
	v_add_f64 v[6:7], v[10:11], v[6:7]
	v_add_f64 v[6:7], v[6:7], -v[8:9]
	v_fma_f64 v[8:9], v[4:5], s[2:3], v[6:7]
	v_add_f64 v[6:7], v[21:22], v[8:9]
	v_add_f64 v[10:11], v[6:7], -v[21:22]
	v_add_f64 v[8:9], v[8:9], -v[10:11]
.LBB1_25:
	s_or_b64 exec, exec, s[0:1]
	v_and_b32_e32 v4, 1, v20
	v_cmp_eq_u32_e32 vcc, 0, v4
	v_mul_f64 v[4:5], v[14:15], v[14:15]
	s_mov_b32 s2, 0xb42fdfa7
	s_mov_b32 s3, 0xbe5ae600
	;; [unrolled: 1-line block ×3, first 2 shown]
	v_mov_b32_e32 v11, s3
	s_mov_b32 s7, 0x3de5e0b2
	v_mov_b32_e32 v10, s2
	s_mov_b32 s8, 0x796cde01
	v_fma_f64 v[21:22], v[4:5], s[6:7], v[10:11]
	s_mov_b32 s9, 0x3ec71de3
	s_mov_b32 s4, 0x19e83e5c
	;; [unrolled: 1-line block ×5, first 2 shown]
	v_mul_f64 v[18:19], v[14:15], -v[4:5]
	v_mul_f64 v[23:24], v[16:17], 0.5
	v_fma_f64 v[21:22], v[4:5], v[21:22], s[8:9]
	s_mov_b32 s2, 0x55555555
	s_mov_b32 s3, 0xbfc55555
	s_mov_b32 s18, 0x9037ab78
	s_mov_b32 s19, 0x3e21eeb6
	s_mov_b32 s16, 0x46cc5e42
	s_mov_b32 s17, 0xbda907db
	s_mov_b32 s20, 0xa17f65f6
	v_fma_f64 v[21:22], v[4:5], v[21:22], s[4:5]
	s_mov_b32 s21, 0xbe927e4f
	s_mov_b32 s22, 0x16c16967
	;; [unrolled: 1-line block ×5, first 2 shown]
	v_mul_f64 v[28:29], v[4:5], v[4:5]
	s_mov_b32 s28, 0x8fb9f87e
	v_fma_f64 v[21:22], v[4:5], v[21:22], s[14:15]
	s_mov_b32 s29, 0x408633ce
	s_mov_b32 s31, 0x3fe62e42
	v_mov_b32_e32 v32, 0x3e928af3
	s_movk_i32 s0, 0x1f8
	v_cmp_class_f64_e64 s[0:1], v[0:1], s0
	s_brev_b32 s27, -2
	v_fma_f64 v[21:22], v[18:19], v[21:22], v[23:24]
	v_mul_f64 v[23:24], v[4:5], 0.5
	v_fma_f64 v[21:22], v[4:5], v[21:22], -v[16:17]
	v_add_f64 v[25:26], -v[23:24], 1.0
	v_fma_f64 v[18:19], v[18:19], s[2:3], v[21:22]
	v_add_f64 v[21:22], v[14:15], -v[18:19]
	v_mov_b32_e32 v18, s18
	v_mov_b32_e32 v19, s19
	v_fma_f64 v[30:31], v[4:5], s[16:17], v[18:19]
	s_mov_b32 s18, 0x19f4ec90
	s_mov_b32 s19, 0x3efa01a0
	v_fma_f64 v[30:31], v[4:5], v[30:31], s[20:21]
	v_fma_f64 v[30:31], v[4:5], v[30:31], s[18:19]
	;; [unrolled: 1-line block ×4, first 2 shown]
	v_add_f64 v[30:31], -v[25:26], 1.0
	v_add_f64 v[23:24], v[30:31], -v[23:24]
	v_mov_b32_e32 v31, 0xfca7ab0c
	v_fma_f64 v[14:15], v[14:15], -v[16:17], v[23:24]
	v_fma_f64 v[4:5], v[28:29], v[4:5], v[14:15]
	v_lshlrev_b32_e32 v14, 30, v20
	v_xor_b32_e32 v14, v14, v1
	v_and_b32_e32 v14, 0x80000000, v14
	v_mov_b32_e32 v28, 0x7ff80000
	v_add_f64 v[4:5], v[25:26], v[4:5]
	v_and_b32_e32 v26, 0x7fffffff, v3
	v_cndmask_b32_e32 v4, v4, v21, vcc
	v_cndmask_b32_e32 v5, v5, v22, vcc
	v_cmp_ge_f64_e64 vcc, |v[2:3]|, s[28:29]
	s_mov_b32 s29, 0xbfe62e42
	s_mov_b32 s28, 0xfefa39ef
	v_xor_b32_e32 v5, v5, v14
	v_add_f64 v[14:15], |v[2:3]|, s[28:29]
	s_mov_b32 s30, s28
	s_mov_b32 s28, 0xfefa3000
	v_cndmask_b32_e64 v4, 0, v4, s[0:1]
	v_cndmask_b32_e64 v5, v28, v5, s[0:1]
	v_add_f64 v[16:17], v[14:15], -|v[2:3]|
	v_add_f64 v[20:21], v[16:17], -v[14:15]
	v_add_f64 v[16:17], v[16:17], s[30:31]
	s_mov_b32 s30, 0x3b39803f
	s_mov_b32 s31, 0xbc7abc9e
	v_add_f64 v[20:21], |v[2:3]|, v[20:21]
	v_add_f64 v[16:17], v[20:21], -v[16:17]
	v_add_f64 v[16:17], v[16:17], s[30:31]
	s_mov_b32 s30, 0x652b82fe
	s_mov_b32 s31, 0x3ff71547
	v_add_f64 v[20:21], v[14:15], v[16:17]
	v_add_f64 v[14:15], v[14:15], -v[20:21]
	v_add_f64 v[14:15], v[16:17], v[14:15]
	v_mul_f64 v[16:17], v[20:21], s[30:31]
	v_rndne_f64_e32 v[16:17], v[16:17]
	v_fma_f64 v[20:21], v[16:17], s[28:29], v[20:21]
	s_mov_b32 s28, 0xf278e000
	s_mov_b32 s29, 0xbd53de6a
	v_mul_f64 v[24:25], v[16:17], s[28:29]
	s_mov_b32 s28, 0xf97b57a0
	s_mov_b32 s29, 0xbac9cc01
	v_add_f64 v[22:23], v[14:15], v[20:21]
	v_add_f64 v[29:30], v[22:23], v[24:25]
	v_add_f64 v[20:21], v[20:21], -v[22:23]
	v_add_f64 v[14:15], v[14:15], v[20:21]
	v_add_f64 v[20:21], v[22:23], -v[29:30]
	v_mul_f64 v[22:23], v[16:17], s[28:29]
	s_mov_b32 s28, 0x6a5dcb37
	s_mov_b32 s29, 0x3e5ade15
	v_add_f64 v[20:21], v[20:21], v[24:25]
	v_add_f64 v[14:15], v[14:15], v[20:21]
	;; [unrolled: 1-line block ×4, first 2 shown]
	v_add_f64 v[29:30], v[29:30], -v[20:21]
	v_add_f64 v[20:21], v[20:21], -v[24:25]
	v_add_f64 v[14:15], v[14:15], v[29:30]
	v_add_f64 v[20:21], v[20:21], v[22:23]
	;; [unrolled: 1-line block ×4, first 2 shown]
	v_fma_f64 v[31:32], v[20:21], s[28:29], v[31:32]
	s_mov_b32 s28, 0x623fde64
	s_mov_b32 s29, 0x3ec71dee
	v_add_f64 v[24:25], v[24:25], -v[20:21]
	v_mul_f64 v[22:23], v[20:21], v[20:21]
	v_fma_f64 v[31:32], v[20:21], v[31:32], s[28:29]
	s_mov_b32 s28, 0x7c89e6b0
	s_mov_b32 s29, 0x3efa0199
	v_add_f64 v[14:15], v[14:15], v[24:25]
	v_fma_f64 v[29:30], v[20:21], v[20:21], -v[22:23]
	v_fma_f64 v[31:32], v[20:21], v[31:32], s[28:29]
	s_mov_b32 s28, 0x14761f6e
	s_mov_b32 s29, 0x3f2a01a0
	v_add_f64 v[24:25], v[14:15], v[14:15]
	v_fma_f64 v[31:32], v[20:21], v[31:32], s[28:29]
	s_mov_b32 s28, 0x1852b7b0
	s_mov_b32 s29, 0x3f56c16c
	v_fma_f64 v[24:25], v[20:21], v[24:25], v[29:30]
	v_fma_f64 v[31:32], v[20:21], v[31:32], s[28:29]
	s_mov_b32 s28, 0x11122322
	s_mov_b32 s29, s15
	v_add_f64 v[29:30], v[22:23], v[24:25]
	v_fma_f64 v[31:32], v[20:21], v[31:32], s[28:29]
	s_mov_b32 s28, 0x555502a1
	s_mov_b32 s29, s25
	v_add_f64 v[22:23], v[29:30], -v[22:23]
	v_fma_f64 v[31:32], v[20:21], v[31:32], s[28:29]
	s_mov_b32 s28, 0x55555511
	s_mov_b32 s29, 0x3fc55555
	v_add_f64 v[22:23], v[24:25], -v[22:23]
	v_fma_f64 v[31:32], v[20:21], v[31:32], s[28:29]
	s_mov_b32 s28, 11
	s_mov_b32 s29, 0x3fe00000
	v_fma_f64 v[31:32], v[20:21], v[31:32], s[28:29]
	v_mul_f64 v[33:34], v[29:30], v[31:32]
	v_fma_f64 v[24:25], v[29:30], v[31:32], -v[33:34]
	v_fma_f64 v[22:23], v[22:23], v[31:32], v[24:25]
	v_add_f64 v[24:25], v[33:34], v[22:23]
	v_add_f64 v[29:30], v[20:21], v[24:25]
	v_add_f64 v[31:32], v[24:25], -v[33:34]
	v_add_f64 v[20:21], v[29:30], -v[20:21]
	;; [unrolled: 1-line block ×3, first 2 shown]
	v_cvt_i32_f64_e32 v31, v[16:17]
	v_add_f64 v[20:21], v[24:25], -v[20:21]
	v_add_f64 v[14:15], v[14:15], v[22:23]
	v_add_f64 v[14:15], v[14:15], v[20:21]
	;; [unrolled: 1-line block ×3, first 2 shown]
	v_add_f64 v[22:23], v[20:21], 1.0
	v_add_f64 v[24:25], v[20:21], -v[29:30]
	v_add_f64 v[14:15], v[14:15], -v[24:25]
	v_add_f64 v[24:25], v[22:23], -1.0
	v_add_f64 v[20:21], v[20:21], -v[24:25]
	v_add_f64 v[14:15], v[14:15], v[20:21]
	v_add_f64 v[20:21], v[22:23], v[14:15]
	v_ldexp_f64 v[16:17], v[20:21], v31
	v_add_f64 v[20:21], v[20:21], -v[22:23]
	v_rcp_f64_e32 v[24:25], v[16:17]
	v_add_f64 v[14:15], v[14:15], -v[20:21]
	v_ldexp_f64 v[14:15], v[14:15], v31
	v_fma_f64 v[29:30], -v[16:17], v[24:25], 1.0
	v_fma_f64 v[24:25], v[29:30], v[24:25], v[24:25]
	v_fma_f64 v[29:30], -v[16:17], v[24:25], 1.0
	v_fma_f64 v[24:25], v[29:30], v[24:25], v[24:25]
	v_mul_f64 v[29:30], v[16:17], v[24:25]
	v_fma_f64 v[20:21], v[24:25], v[16:17], -v[29:30]
	v_fma_f64 v[20:21], v[24:25], v[14:15], v[20:21]
	v_add_f64 v[22:23], v[29:30], v[20:21]
	v_add_f64 v[31:32], -v[22:23], 1.0
	v_add_f64 v[29:30], v[22:23], -v[29:30]
	v_add_f64 v[20:21], v[29:30], -v[20:21]
	v_add_f64 v[29:30], -v[31:32], 1.0
	v_add_f64 v[22:23], v[29:30], -v[22:23]
	v_add_f64 v[20:21], v[20:21], v[22:23]
	v_add_f64 v[22:23], v[31:32], v[20:21]
	v_mul_f64 v[29:30], v[24:25], v[22:23]
	v_add_f64 v[31:32], v[31:32], -v[22:23]
	v_add_f64 v[33:34], v[24:25], v[29:30]
	v_mul_f64 v[37:38], v[16:17], v[29:30]
	v_add_f64 v[20:21], v[20:21], v[31:32]
	v_add_f64 v[35:36], v[33:34], -v[24:25]
	v_fma_f64 v[39:40], v[29:30], v[16:17], -v[37:38]
	v_add_f64 v[35:36], v[29:30], -v[35:36]
	v_fma_f64 v[29:30], v[29:30], v[14:15], v[39:40]
	v_add_f64 v[39:40], v[37:38], v[29:30]
	v_add_f64 v[41:42], v[22:23], -v[39:40]
	v_add_f64 v[37:38], v[39:40], -v[37:38]
	;; [unrolled: 1-line block ×5, first 2 shown]
	v_add_f64 v[20:21], v[20:21], v[22:23]
	v_add_f64 v[20:21], v[29:30], v[20:21]
	;; [unrolled: 1-line block ×3, first 2 shown]
	v_mul_f64 v[20:21], v[24:25], v[20:21]
	v_add_f64 v[22:23], v[35:36], v[20:21]
	v_add_f64 v[24:25], v[33:34], v[22:23]
	v_ldexp_f64 v[20:21], v[24:25], -2
	v_add_f64 v[24:25], v[24:25], -v[33:34]
	v_add_f64 v[29:30], v[16:17], v[20:21]
	v_add_f64 v[22:23], v[22:23], -v[24:25]
	v_add_f64 v[31:32], v[29:30], -v[16:17]
	v_ldexp_f64 v[22:23], v[22:23], -2
	v_add_f64 v[31:32], v[20:21], -v[31:32]
	v_add_f64 v[24:25], v[14:15], v[22:23]
	v_add_f64 v[24:25], v[24:25], v[31:32]
	v_add_f64 v[24:25], v[29:30], v[24:25]
	v_mov_b32_e32 v29, 0x7ff00000
	v_cndmask_b32_e32 v25, v25, v29, vcc
	v_cndmask_b32_e64 v24, v24, 0, vcc
	v_mul_f64 v[4:5], v[24:25], v[4:5]
	v_mul_f64 v[24:25], v[6:7], v[6:7]
	v_mul_f64 v[30:31], v[24:25], 0.5
	v_fma_f64 v[18:19], v[24:25], s[16:17], v[18:19]
	v_fma_f64 v[10:11], v[24:25], s[6:7], v[10:11]
	v_add_f64 v[32:33], -v[30:31], 1.0
	v_fma_f64 v[18:19], v[24:25], v[18:19], s[20:21]
	v_fma_f64 v[10:11], v[24:25], v[10:11], s[8:9]
	v_add_f64 v[34:35], -v[32:33], 1.0
	v_fma_f64 v[18:19], v[24:25], v[18:19], s[18:19]
	v_fma_f64 v[10:11], v[24:25], v[10:11], s[4:5]
	v_add_f64 v[30:31], v[34:35], -v[30:31]
	v_fma_f64 v[18:19], v[24:25], v[18:19], s[22:23]
	v_mul_f64 v[34:35], v[24:25], v[24:25]
	v_fma_f64 v[10:11], v[24:25], v[10:11], s[14:15]
	v_fma_f64 v[30:31], v[6:7], -v[8:9], v[30:31]
	v_fma_f64 v[18:19], v[24:25], v[18:19], s[24:25]
	v_fma_f64 v[18:19], v[34:35], v[18:19], v[30:31]
	v_mul_f64 v[30:31], v[6:7], -v[24:25]
	v_add_f64 v[18:19], v[32:33], v[18:19]
	v_mul_f64 v[32:33], v[8:9], 0.5
	v_fma_f64 v[10:11], v[30:31], v[10:11], v[32:33]
	v_fma_f64 v[8:9], v[24:25], v[10:11], -v[8:9]
	v_fma_f64 v[8:9], v[30:31], s[2:3], v[8:9]
	v_add_f64 v[6:7], v[6:7], -v[8:9]
	v_and_b32_e32 v8, 1, v27
	v_cmp_eq_u32_e64 s[2:3], 0, v8
	v_lshlrev_b32_e32 v8, 30, v27
	v_and_b32_e32 v8, 0x80000000, v8
	v_xor_b32_e32 v7, 0x80000000, v7
	v_cndmask_b32_e64 v7, v7, v19, s[2:3]
	v_xor_b32_e32 v7, v7, v8
	v_add_f64 v[8:9], v[16:17], -v[20:21]
	v_cndmask_b32_e64 v6, v6, v18, s[2:3]
	v_cndmask_b32_e64 v6, 0, v6, s[0:1]
	;; [unrolled: 1-line block ×3, first 2 shown]
	s_mov_b32 s0, 0
	s_mov_b32 s1, 0x3e400000
	v_add_f64 v[10:11], v[16:17], -v[8:9]
	v_add_f64 v[10:11], v[10:11], -v[20:21]
	v_add_f64 v[10:11], v[14:15], v[10:11]
	v_add_f64 v[10:11], v[10:11], -v[22:23]
	v_add_f64 v[9:10], v[8:9], v[10:11]
	v_cndmask_b32_e32 v8, v10, v29, vcc
	v_cndmask_b32_e64 v9, v9, 0, vcc
	v_cmp_lt_f64_e64 vcc, |v[2:3]|, s[0:1]
	v_cndmask_b32_e32 v8, v8, v26, vcc
	v_cndmask_b32_e32 v9, v9, v2, vcc
	v_bfi_b32 v10, s27, v8, v3
	v_mul_f64 v[6:7], v[9:10], v[6:7]
.LBB1_26:
	s_cbranch_execnz .LBB1_34
.LBB1_27:
	s_waitcnt vmcnt(0)
	v_cmp_lt_f64_e64 s[0:1], |v[0:1]|, |v[2:3]|
	s_cmp_gt_i32 s26, 4
	s_cbranch_scc0 .LBB1_29
; %bb.28:
	v_max_f64 v[4:5], |v[2:3]|, |v[2:3]|
	v_max_f64 v[6:7], |v[0:1]|, |v[0:1]|
	s_movk_i32 s4, 0x204
	v_max_f64 v[8:9], v[6:7], v[4:5]
	v_min_f64 v[4:5], v[6:7], v[4:5]
	v_div_scale_f64 v[6:7], s[2:3], v[8:9], v[8:9], v[4:5]
	s_mov_b32 s2, 0xb5e68a13
	s_mov_b32 s3, 0x3eeba404
	v_rcp_f64_e32 v[10:11], v[6:7]
	v_fma_f64 v[14:15], -v[6:7], v[10:11], 1.0
	v_fma_f64 v[10:11], v[10:11], v[14:15], v[10:11]
	v_div_scale_f64 v[14:15], vcc, v[4:5], v[8:9], v[4:5]
	v_fma_f64 v[16:17], -v[6:7], v[10:11], 1.0
	v_fma_f64 v[10:11], v[10:11], v[16:17], v[10:11]
	v_mul_f64 v[16:17], v[14:15], v[10:11]
	v_fma_f64 v[6:7], -v[6:7], v[16:17], v[14:15]
	v_div_fmas_f64 v[6:7], v[6:7], v[10:11], v[16:17]
	v_ashrrev_i32_e32 v10, 31, v1
	v_cmp_gt_i32_e32 vcc, 0, v1
	v_mov_b32_e32 v11, 0x4002d97c
	v_div_fixup_f64 v[4:5], v[6:7], v[8:9], v[4:5]
	v_mov_b32_e32 v8, 0xbd3237f4
	v_mov_b32_e32 v9, 0xbf23e260
	v_mul_f64 v[6:7], v[4:5], v[4:5]
	v_fma_f64 v[8:9], v[6:7], s[2:3], v[8:9]
	s_mov_b32 s2, 0x69efb384
	s_mov_b32 s3, 0x3f4b2bb0
	v_fma_f64 v[8:9], v[6:7], v[8:9], s[2:3]
	s_mov_b32 s2, 0xaf56de9b
	s_mov_b32 s3, 0xbf67952d
	;; [unrolled: 3-line block ×19, first 2 shown]
	v_mul_f64 v[6:7], v[6:7], v[8:9]
	v_mov_b32_e32 v8, 0x54442d18
	v_mov_b32_e32 v9, 0x7f3321d2
	v_cndmask_b32_e32 v8, v8, v9, vcc
	v_and_b32_e32 v9, 0x54442d18, v10
	v_and_b32_e32 v10, 0x400921fb, v10
	v_fma_f64 v[4:5], v[4:5], v[6:7], v[4:5]
	v_add_f64 v[6:7], -v[4:5], s[2:3]
	s_mov_b32 s3, 0x400921fb
	v_cndmask_b32_e64 v5, v5, v7, s[0:1]
	v_cndmask_b32_e64 v4, v4, v6, s[0:1]
	v_add_f64 v[6:7], -v[4:5], s[2:3]
	v_cmp_class_f64_e64 s[2:3], v[2:3], s4
	v_cmp_eq_f64_e64 s[0:1], 0, v[2:3]
	v_cmp_class_f64_e64 s[4:5], v[0:1], s4
	v_cndmask_b32_e32 v4, v4, v6, vcc
	v_mov_b32_e32 v6, 0x3fe921fb
	v_cndmask_b32_e32 v5, v5, v7, vcc
	v_cndmask_b32_e32 v6, v6, v11, vcc
	v_cndmask_b32_e64 v4, v4, v9, s[0:1]
	v_cndmask_b32_e64 v5, v5, v10, s[0:1]
	s_and_b64 vcc, s[4:5], s[2:3]
	v_cndmask_b32_e32 v5, v5, v6, vcc
	v_cndmask_b32_e32 v4, v4, v8, vcc
	v_cmp_o_f64_e32 vcc, v[0:1], v[2:3]
	v_mov_b32_e32 v6, 0x7ff80000
	s_brev_b32 s2, -2
	v_cndmask_b32_e32 v5, v6, v5, vcc
	v_cndmask_b32_e32 v4, 0, v4, vcc
	v_bfi_b32 v5, s2, v5, v3
	s_cbranch_execz .LBB1_30
	s_branch .LBB1_33
.LBB1_29:
                                        ; implicit-def: $vgpr4_vgpr5
.LBB1_30:
	v_cmp_lt_f64_e64 vcc, |v[0:1]|, |v[2:3]|
	v_and_b32_e32 v4, 0x7fffffff, v1
	v_and_b32_e32 v5, 0x7fffffff, v3
	v_cndmask_b32_e32 v5, v4, v5, vcc
	v_cndmask_b32_e32 v4, v0, v2, vcc
	v_cmp_neq_f64_e32 vcc, 0, v[4:5]
	s_and_saveexec_b64 s[2:3], vcc
	s_cbranch_execz .LBB1_32
; %bb.31:
	v_div_scale_f64 v[6:7], s[0:1], v[4:5], v[4:5], v[0:1]
	v_div_scale_f64 v[8:9], s[0:1], v[4:5], v[4:5], v[2:3]
	;; [unrolled: 1-line block ×3, first 2 shown]
	v_rcp_f64_e32 v[10:11], v[6:7]
	v_rcp_f64_e32 v[14:15], v[8:9]
	v_fma_f64 v[16:17], -v[6:7], v[10:11], 1.0
	v_fma_f64 v[18:19], -v[8:9], v[14:15], 1.0
	v_fma_f64 v[10:11], v[10:11], v[16:17], v[10:11]
	v_div_scale_f64 v[16:17], vcc, v[0:1], v[4:5], v[0:1]
	v_fma_f64 v[14:15], v[14:15], v[18:19], v[14:15]
	v_fma_f64 v[18:19], -v[6:7], v[10:11], 1.0
	v_fma_f64 v[22:23], -v[8:9], v[14:15], 1.0
	v_fma_f64 v[10:11], v[10:11], v[18:19], v[10:11]
	v_fma_f64 v[14:15], v[14:15], v[22:23], v[14:15]
	v_mul_f64 v[18:19], v[16:17], v[10:11]
	v_mul_f64 v[22:23], v[20:21], v[14:15]
	v_fma_f64 v[6:7], -v[6:7], v[18:19], v[16:17]
	v_fma_f64 v[8:9], -v[8:9], v[22:23], v[20:21]
	v_div_fmas_f64 v[6:7], v[6:7], v[10:11], v[18:19]
	s_mov_b64 vcc, s[0:1]
	s_mov_b32 s0, 0
	v_div_fmas_f64 v[8:9], v[8:9], v[14:15], v[22:23]
	s_brev_b32 s1, 8
	v_div_fixup_f64 v[6:7], v[6:7], v[4:5], v[0:1]
	v_div_fixup_f64 v[8:9], v[8:9], v[4:5], v[2:3]
	v_mul_f64 v[8:9], v[8:9], v[8:9]
	v_fma_f64 v[6:7], v[6:7], v[6:7], v[8:9]
	v_mov_b32_e32 v8, 0x100
	v_cmp_gt_f64_e32 vcc, s[0:1], v[6:7]
	v_cndmask_b32_e32 v8, 0, v8, vcc
	v_ldexp_f64 v[6:7], v[6:7], v8
	v_rsq_f64_e32 v[8:9], v[6:7]
	v_mul_f64 v[10:11], v[6:7], v[8:9]
	v_mul_f64 v[8:9], v[8:9], 0.5
	v_fma_f64 v[14:15], -v[8:9], v[10:11], 0.5
	v_fma_f64 v[10:11], v[10:11], v[14:15], v[10:11]
	v_fma_f64 v[8:9], v[8:9], v[14:15], v[8:9]
	v_fma_f64 v[14:15], -v[10:11], v[10:11], v[6:7]
	v_fma_f64 v[10:11], v[14:15], v[8:9], v[10:11]
	v_fma_f64 v[14:15], -v[10:11], v[10:11], v[6:7]
	v_fma_f64 v[8:9], v[14:15], v[8:9], v[10:11]
	v_mov_b32_e32 v10, 0xffffff80
	v_mov_b32_e32 v11, 0x260
	v_cndmask_b32_e32 v10, 0, v10, vcc
	v_cmp_class_f64_e32 vcc, v[6:7], v11
	v_ldexp_f64 v[8:9], v[8:9], v10
	v_cndmask_b32_e32 v7, v9, v7, vcc
	v_cndmask_b32_e32 v6, v8, v6, vcc
	v_mul_f64 v[4:5], v[4:5], v[6:7]
.LBB1_32:
	s_or_b64 exec, exec, s[2:3]
.LBB1_33:
	v_mov_b32_e32 v6, 0
	v_mov_b32_e32 v7, 0
.LBB1_34:
	s_cbranch_execnz .LBB1_63
.LBB1_35:
	v_mov_b32_e32 v5, s11
	v_add_co_u32_e32 v4, vcc, s10, v12
	v_addc_co_u32_e32 v5, vcc, v5, v13, vcc
	global_load_dwordx4 v[8:11], v[4:5], off
	s_cmp_lt_i32 s26, 2
	s_cbranch_scc1 .LBB1_52
; %bb.36:
	s_cmp_gt_i32 s26, 2
	s_cbranch_scc0 .LBB1_53
; %bb.37:
	s_waitcnt vmcnt(0)
	v_max_f64 v[4:5], |v[10:11]|, |v[10:11]|
	v_max_f64 v[6:7], |v[8:9]|, |v[8:9]|
	s_mov_b32 s0, 0
	s_mov_b32 s1, 0x7ff00000
	v_mov_b32_e32 v14, 0xfff00000
	s_mov_b64 s[4:5], 0
	v_max_f64 v[4:5], v[6:7], v[4:5]
	v_frexp_exp_i32_f64_e32 v6, v[4:5]
	v_cmp_lg_f64_e32 vcc, s[0:1], v[4:5]
	s_movk_i32 s0, 0x1f8
	v_add_u32_e32 v6, -1, v6
	v_cvt_f64_i32_e32 v[6:7], v6
	v_cndmask_b32_e32 v6, v4, v6, vcc
	v_cndmask_b32_e32 v7, v5, v7, vcc
	v_cmp_neq_f64_e32 vcc, 0, v[4:5]
	v_cndmask_b32_e32 v19, v14, v7, vcc
	v_cndmask_b32_e32 v18, 0, v6, vcc
	v_cvt_i32_f64_e32 v38, v[18:19]
	v_cmp_class_f64_e64 s[0:1], v[18:19], s0
	v_sub_u32_e32 v6, 0, v38
	v_ldexp_f64 v[4:5], v[8:9], v6
	v_ldexp_f64 v[6:7], v[10:11], v6
	v_cndmask_b32_e64 v15, v9, v5, s[0:1]
	v_cndmask_b32_e64 v17, v11, v7, s[0:1]
	;; [unrolled: 1-line block ×3, first 2 shown]
	v_mul_f64 v[5:6], v[16:17], v[16:17]
	v_mul_f64 v[22:23], v[2:3], v[16:17]
	;; [unrolled: 1-line block ×3, first 2 shown]
	v_cndmask_b32_e64 v14, v8, v4, s[0:1]
	v_fma_f64 v[20:21], v[14:15], v[14:15], v[5:6]
	v_fma_f64 v[4:5], v[0:1], v[14:15], v[22:23]
	v_fma_f64 v[6:7], v[2:3], v[14:15], -v[24:25]
	v_div_scale_f64 v[22:23], s[2:3], v[20:21], v[20:21], v[4:5]
	v_div_scale_f64 v[24:25], s[2:3], v[20:21], v[20:21], v[6:7]
	;; [unrolled: 1-line block ×3, first 2 shown]
	v_rcp_f64_e32 v[26:27], v[22:23]
	v_rcp_f64_e32 v[28:29], v[24:25]
	v_fma_f64 v[30:31], -v[22:23], v[26:27], 1.0
	v_fma_f64 v[32:33], -v[24:25], v[28:29], 1.0
	v_fma_f64 v[26:27], v[26:27], v[30:31], v[26:27]
	v_div_scale_f64 v[30:31], vcc, v[4:5], v[20:21], v[4:5]
	v_fma_f64 v[28:29], v[28:29], v[32:33], v[28:29]
	v_fma_f64 v[32:33], -v[22:23], v[26:27], 1.0
	v_fma_f64 v[36:37], -v[24:25], v[28:29], 1.0
	v_fma_f64 v[26:27], v[26:27], v[32:33], v[26:27]
	v_fma_f64 v[28:29], v[28:29], v[36:37], v[28:29]
	v_mul_f64 v[32:33], v[30:31], v[26:27]
	v_mul_f64 v[36:37], v[34:35], v[28:29]
	v_fma_f64 v[22:23], -v[22:23], v[32:33], v[30:31]
	v_fma_f64 v[24:25], -v[24:25], v[36:37], v[34:35]
	v_div_fmas_f64 v[22:23], v[22:23], v[26:27], v[32:33]
	s_mov_b64 vcc, s[2:3]
	v_div_fmas_f64 v[24:25], v[24:25], v[28:29], v[36:37]
	v_div_fixup_f64 v[4:5], v[22:23], v[20:21], v[4:5]
	v_cndmask_b32_e64 v22, 0, v38, s[0:1]
	v_sub_u32_e32 v22, 0, v22
	v_div_fixup_f64 v[6:7], v[24:25], v[20:21], v[6:7]
	v_ldexp_f64 v[4:5], v[4:5], v22
	v_ldexp_f64 v[6:7], v[6:7], v22
	v_cmp_u_f64_e32 vcc, v[4:5], v[4:5]
	v_cmp_u_f64_e64 s[0:1], v[6:7], v[6:7]
	s_and_b64 s[0:1], vcc, s[0:1]
	s_and_saveexec_b64 s[6:7], s[0:1]
	s_cbranch_execz .LBB1_51
; %bb.38:
	v_cmp_neq_f64_e64 s[2:3], 0, v[20:21]
	v_cmp_eq_f64_e32 vcc, 0, v[20:21]
                                        ; implicit-def: $vgpr20_vgpr21
                                        ; implicit-def: $vgpr22_vgpr23
	s_and_saveexec_b64 s[8:9], vcc
	s_cbranch_execz .LBB1_42
; %bb.39:
	v_cmp_o_f64_e32 vcc, v[0:1], v[0:1]
	v_cmp_o_f64_e64 s[0:1], v[2:3], v[2:3]
	s_mov_b64 s[10:11], -1
                                        ; implicit-def: $vgpr20_vgpr21
                                        ; implicit-def: $vgpr22_vgpr23
	s_or_b64 s[14:15], vcc, s[0:1]
	s_and_saveexec_b64 s[0:1], s[14:15]
	s_cbranch_execz .LBB1_41
; %bb.40:
	s_brev_b32 s10, -2
	v_mov_b32_e32 v20, 0x7ff00000
	v_bfi_b32 v21, s10, v20, v15
	v_mov_b32_e32 v20, 0
	v_mul_f64 v[22:23], v[0:1], v[20:21]
	v_mul_f64 v[20:21], v[2:3], v[20:21]
	s_xor_b64 s[10:11], exec, -1
.LBB1_41:
	s_or_b64 exec, exec, s[0:1]
	s_andn2_b64 s[0:1], s[2:3], exec
	s_and_b64 s[2:3], s[10:11], exec
	s_or_b64 s[2:3], s[0:1], s[2:3]
.LBB1_42:
	s_or_b64 exec, exec, s[8:9]
	s_and_saveexec_b64 s[8:9], s[2:3]
	s_cbranch_execz .LBB1_50
; %bb.43:
	s_movk_i32 s2, 0x204
	v_cmp_class_f64_e64 s[0:1], v[0:1], s2
	v_cmp_class_f64_e64 vcc, v[2:3], s2
	s_mov_b32 s2, 0
	s_mov_b32 s3, 0x7ff00000
	v_cmp_nlg_f64_e64 s[10:11], |v[14:15]|, s[2:3]
	v_cmp_nlg_f64_e64 s[14:15], |v[16:17]|, s[2:3]
	s_nor_b64 s[16:17], s[0:1], vcc
	s_or_b64 s[10:11], s[16:17], s[10:11]
	s_or_b64 s[10:11], s[10:11], s[14:15]
	s_and_saveexec_b64 s[14:15], s[10:11]
	s_xor_b64 s[10:11], exec, s[14:15]
	s_cbranch_execz .LBB1_47
; %bb.44:
	s_movk_i32 s16, 0x1f8
	v_cmp_class_f64_e64 s[14:15], v[0:1], s16
	v_cmp_class_f64_e64 s[16:17], v[2:3], s16
	v_cmp_eq_f64_e64 s[2:3], s[2:3], v[18:19]
	s_and_b64 s[14:15], s[14:15], s[16:17]
	s_and_b64 s[2:3], s[14:15], s[2:3]
	s_and_saveexec_b64 s[14:15], s[2:3]
	s_cbranch_execz .LBB1_46
; %bb.45:
	s_movk_i32 s16, 0x204
	v_cmp_class_f64_e64 s[2:3], v[16:17], s16
	v_mov_b32_e32 v18, 0x3ff00000
	s_brev_b32 s17, -2
	v_mov_b32_e32 v4, 0
	v_cndmask_b32_e64 v5, 0, v18, s[2:3]
	v_cmp_class_f64_e64 s[2:3], v[14:15], s16
	v_bfi_b32 v6, s17, v5, v17
	v_mov_b32_e32 v5, v4
	v_mul_f64 v[16:17], v[2:3], v[5:6]
	v_mul_f64 v[6:7], v[0:1], v[5:6]
	v_cndmask_b32_e64 v5, 0, v18, s[2:3]
	v_bfi_b32 v5, s17, v5, v15
	v_fma_f64 v[14:15], v[0:1], v[4:5], v[16:17]
	v_fma_f64 v[6:7], v[2:3], v[4:5], -v[6:7]
	v_mul_f64 v[4:5], v[14:15], 0
	v_mul_f64 v[6:7], v[6:7], 0
.LBB1_46:
	s_or_b64 exec, exec, s[14:15]
                                        ; implicit-def: $vgpr16_vgpr17
                                        ; implicit-def: $vgpr14_vgpr15
.LBB1_47:
	s_andn2_saveexec_b64 s[2:3], s[10:11]
	s_cbranch_execz .LBB1_49
; %bb.48:
	v_mov_b32_e32 v6, 0x3ff00000
	v_cndmask_b32_e64 v4, 0, v6, s[0:1]
	s_brev_b32 s0, -2
	v_bfi_b32 v5, s0, v4, v1
	v_mov_b32_e32 v4, 0
	v_cndmask_b32_e32 v6, 0, v6, vcc
	v_bfi_b32 v7, s0, v6, v3
	v_mov_b32_e32 v6, v4
	v_mul_f64 v[18:19], v[6:7], v[16:17]
	v_mul_f64 v[16:17], v[4:5], v[16:17]
	s_mov_b32 s0, 0
	s_mov_b32 s1, 0x7ff00000
	v_fma_f64 v[4:5], v[4:5], v[14:15], v[18:19]
	v_fma_f64 v[6:7], v[6:7], v[14:15], -v[16:17]
	v_mul_f64 v[4:5], v[4:5], s[0:1]
	v_mul_f64 v[6:7], v[6:7], s[0:1]
.LBB1_49:
	s_or_b64 exec, exec, s[2:3]
	v_mov_b32_e32 v21, v7
	v_mov_b32_e32 v23, v5
	;; [unrolled: 1-line block ×4, first 2 shown]
.LBB1_50:
	s_or_b64 exec, exec, s[8:9]
	v_mov_b32_e32 v6, v20
	v_mov_b32_e32 v4, v22
	;; [unrolled: 1-line block ×4, first 2 shown]
.LBB1_51:
	s_or_b64 exec, exec, s[6:7]
	s_andn2_b64 vcc, exec, s[4:5]
	s_cbranch_vccz .LBB1_54
	s_branch .LBB1_56
.LBB1_52:
                                        ; implicit-def: $vgpr6_vgpr7
	s_branch .LBB1_57
.LBB1_53:
                                        ; implicit-def: $vgpr6_vgpr7
.LBB1_54:
	s_waitcnt vmcnt(0)
	v_mul_f64 v[24:25], v[2:3], v[10:11]
	v_mul_f64 v[22:23], v[0:1], v[10:11]
	v_fma_f64 v[4:5], v[0:1], v[8:9], -v[24:25]
	v_fma_f64 v[6:7], v[2:3], v[8:9], v[22:23]
	v_cmp_u_f64_e32 vcc, v[4:5], v[4:5]
	s_and_saveexec_b64 s[6:7], vcc
	s_cbranch_execnz .LBB1_64
.LBB1_55:
	s_or_b64 exec, exec, s[6:7]
.LBB1_56:
	s_cbranch_execnz .LBB1_63
.LBB1_57:
	s_cmp_gt_i32 s26, 0
	s_cbranch_scc0 .LBB1_59
; %bb.58:
	s_waitcnt vmcnt(0)
	v_add_f64 v[4:5], v[0:1], -v[8:9]
	v_add_f64 v[6:7], v[2:3], -v[10:11]
	s_cbranch_execz .LBB1_60
	s_branch .LBB1_63
.LBB1_59:
                                        ; implicit-def: $vgpr6_vgpr7
.LBB1_60:
	s_cmp_lg_u32 s26, 0
	s_cbranch_scc1 .LBB1_62
; %bb.61:
	s_waitcnt vmcnt(0)
	v_add_f64 v[0:1], v[0:1], v[8:9]
	v_add_f64 v[2:3], v[2:3], v[10:11]
.LBB1_62:
	s_waitcnt vmcnt(1)
	v_mov_b32_e32 v7, v3
	v_mov_b32_e32 v5, v1
	;; [unrolled: 1-line block ×4, first 2 shown]
.LBB1_63:
	s_waitcnt vmcnt(0)
	v_mov_b32_e32 v1, s13
	v_add_co_u32_e32 v0, vcc, s12, v12
	v_addc_co_u32_e32 v1, vcc, v1, v13, vcc
	global_store_dwordx4 v[0:1], v[4:7], off
	s_endpgm
.LBB1_64:
	v_cmp_u_f64_e32 vcc, v[6:7], v[6:7]
	s_and_saveexec_b64 s[8:9], vcc
	s_cbranch_execnz .LBB1_66
.LBB1_65:
	s_or_b64 exec, exec, s[8:9]
	s_branch .LBB1_55
.LBB1_66:
	s_movk_i32 s10, 0x204
	v_cmp_class_f64_e64 s[4:5], v[0:1], s10
	v_cmp_class_f64_e64 s[0:1], v[2:3], s10
	v_mov_b32_e32 v19, v11
	v_mov_b32_e32 v21, v9
	;; [unrolled: 1-line block ×8, first 2 shown]
	s_or_b64 s[14:15], s[4:5], s[0:1]
	v_mov_b32_e32 v14, v0
	s_and_saveexec_b64 s[2:3], s[14:15]
	s_cbranch_execz .LBB1_70
; %bb.67:
	v_cmp_u_f64_e32 vcc, v[8:9], v[8:9]
	v_cndmask_b32_e64 v16, 0, 1, s[0:1]
	v_cmp_u_f64_e64 s[0:1], v[10:11], v[10:11]
	v_cndmask_b32_e64 v14, 0, 1, s[4:5]
	v_cvt_f64_u32_e32 v[14:15], v14
	v_cvt_f64_u32_e32 v[16:17], v16
	v_and_b32_e32 v18, 0x80000000, v9
	s_brev_b32 s11, -2
	v_cndmask_b32_e32 v21, v9, v18, vcc
	v_mov_b32_e32 v19, v11
	v_bfi_b32 v15, s11, v15, v1
	v_bfi_b32 v17, s11, v17, v3
	v_cndmask_b32_e64 v20, v8, 0, vcc
	v_mov_b32_e32 v18, v10
	s_and_saveexec_b64 s[4:5], s[0:1]
; %bb.68:
	v_bfi_b32 v19, s11, 0, v11
	v_mov_b32_e32 v18, 0
; %bb.69:
	s_or_b64 exec, exec, s[4:5]
	v_mov_b32_e32 v28, 1
.LBB1_70:
	s_or_b64 exec, exec, s[2:3]
	v_cmp_class_f64_e64 s[4:5], v[20:21], s10
	v_cmp_class_f64_e64 s[2:3], v[18:19], s10
	s_or_b64 s[10:11], s[2:3], s[4:5]
	s_and_saveexec_b64 s[0:1], s[10:11]
	s_cbranch_execz .LBB1_74
; %bb.71:
	v_cmp_u_f64_e32 vcc, v[14:15], v[14:15]
	v_cndmask_b32_e64 v18, 0, 1, s[4:5]
	v_cvt_f64_u32_e32 v[26:27], v18
	s_brev_b32 s4, -2
	v_cndmask_b32_e64 v18, 0, 1, s[2:3]
	v_bfi_b32 v27, s4, v27, v21
	v_cvt_f64_u32_e32 v[20:21], v18
	v_and_b32_e32 v18, 0x80000000, v15
	v_cndmask_b32_e64 v14, v14, 0, vcc
	v_cndmask_b32_e32 v15, v15, v18, vcc
	v_cmp_u_f64_e32 vcc, v[16:17], v[16:17]
	v_bfi_b32 v21, s4, v21, v19
	s_and_saveexec_b64 s[2:3], vcc
; %bb.72:
	v_bfi_b32 v17, s4, 0, v17
	v_mov_b32_e32 v16, 0
; %bb.73:
	s_or_b64 exec, exec, s[2:3]
	v_mov_b32_e32 v18, v20
	v_mov_b32_e32 v19, v21
	;; [unrolled: 1-line block ×5, first 2 shown]
.LBB1_74:
	s_or_b64 exec, exec, s[0:1]
	v_cmp_eq_u32_e32 vcc, 0, v28
	s_mov_b64 s[0:1], -1
	s_and_saveexec_b64 s[10:11], vcc
	s_cbranch_execz .LBB1_80
; %bb.75:
	v_mul_f64 v[26:27], v[0:1], v[8:9]
	v_mul_f64 v[28:29], v[2:3], v[8:9]
	s_movk_i32 s14, 0x204
	v_cmp_class_f64_e64 s[0:1], v[24:25], s14
	v_cmp_class_f64_e64 s[4:5], v[22:23], s14
	;; [unrolled: 1-line block ×4, first 2 shown]
	s_or_b64 s[0:1], s[2:3], s[0:1]
	s_or_b64 s[0:1], s[4:5], s[0:1]
	s_or_b64 s[2:3], s[14:15], s[0:1]
	s_mov_b64 s[0:1], 0
	s_and_saveexec_b64 s[14:15], s[2:3]
	s_cbranch_execz .LBB1_79
; %bb.76:
	v_cmp_u_f64_e32 vcc, v[14:15], v[14:15]
	v_cmp_u_f64_e64 s[0:1], v[16:17], v[16:17]
	v_cmp_u_f64_e64 s[2:3], v[20:21], v[20:21]
	;; [unrolled: 1-line block ×3, first 2 shown]
	v_and_b32_e32 v22, 0x80000000, v15
	v_and_b32_e32 v23, 0x80000000, v17
	v_cndmask_b32_e32 v15, v15, v22, vcc
	v_and_b32_e32 v22, 0x80000000, v21
	v_cndmask_b32_e64 v14, v14, 0, vcc
	v_cndmask_b32_e64 v16, v16, 0, s[0:1]
	v_cndmask_b32_e64 v17, v17, v23, s[0:1]
	;; [unrolled: 1-line block ×4, first 2 shown]
	s_and_saveexec_b64 s[0:1], s[4:5]
; %bb.77:
	s_brev_b32 s2, -2
	v_bfi_b32 v19, s2, 0, v19
	v_mov_b32_e32 v18, 0
; %bb.78:
	s_or_b64 exec, exec, s[0:1]
	s_mov_b64 s[0:1], exec
.LBB1_79:
	s_or_b64 exec, exec, s[14:15]
	s_orn2_b64 s[0:1], s[0:1], exec
.LBB1_80:
	s_or_b64 exec, exec, s[10:11]
	s_and_saveexec_b64 s[2:3], s[0:1]
	s_cbranch_execz .LBB1_82
; %bb.81:
	v_mul_f64 v[4:5], v[18:19], v[16:17]
	v_mul_f64 v[6:7], v[18:19], v[14:15]
	s_mov_b32 s0, 0
	s_mov_b32 s1, 0x7ff00000
	v_fma_f64 v[4:5], v[20:21], v[14:15], -v[4:5]
	v_fma_f64 v[6:7], v[20:21], v[16:17], v[6:7]
	v_mul_f64 v[4:5], v[4:5], s[0:1]
	v_mul_f64 v[6:7], v[6:7], s[0:1]
.LBB1_82:
	s_or_b64 exec, exec, s[2:3]
	s_branch .LBB1_65
	.section	.rodata,"a",@progbits
	.p2align	6, 0x0
	.amdhsa_kernel _Z6kernelIdEvPSt7complexIT_ES3_S3_8CalcKind
		.amdhsa_group_segment_fixed_size 0
		.amdhsa_private_segment_fixed_size 0
		.amdhsa_kernarg_size 288
		.amdhsa_user_sgpr_count 6
		.amdhsa_user_sgpr_private_segment_buffer 1
		.amdhsa_user_sgpr_dispatch_ptr 0
		.amdhsa_user_sgpr_queue_ptr 0
		.amdhsa_user_sgpr_kernarg_segment_ptr 1
		.amdhsa_user_sgpr_dispatch_id 0
		.amdhsa_user_sgpr_flat_scratch_init 0
		.amdhsa_user_sgpr_private_segment_size 0
		.amdhsa_uses_dynamic_stack 0
		.amdhsa_system_sgpr_private_segment_wavefront_offset 0
		.amdhsa_system_sgpr_workgroup_id_x 1
		.amdhsa_system_sgpr_workgroup_id_y 0
		.amdhsa_system_sgpr_workgroup_id_z 0
		.amdhsa_system_sgpr_workgroup_info 0
		.amdhsa_system_vgpr_workitem_id 0
		.amdhsa_next_free_vgpr 43
		.amdhsa_next_free_sgpr 32
		.amdhsa_reserve_vcc 1
		.amdhsa_reserve_flat_scratch 0
		.amdhsa_float_round_mode_32 0
		.amdhsa_float_round_mode_16_64 0
		.amdhsa_float_denorm_mode_32 3
		.amdhsa_float_denorm_mode_16_64 3
		.amdhsa_dx10_clamp 1
		.amdhsa_ieee_mode 1
		.amdhsa_fp16_overflow 0
		.amdhsa_exception_fp_ieee_invalid_op 0
		.amdhsa_exception_fp_denorm_src 0
		.amdhsa_exception_fp_ieee_div_zero 0
		.amdhsa_exception_fp_ieee_overflow 0
		.amdhsa_exception_fp_ieee_underflow 0
		.amdhsa_exception_fp_ieee_inexact 0
		.amdhsa_exception_int_div_zero 0
	.end_amdhsa_kernel
	.section	.text._Z6kernelIdEvPSt7complexIT_ES3_S3_8CalcKind,"axG",@progbits,_Z6kernelIdEvPSt7complexIT_ES3_S3_8CalcKind,comdat
.Lfunc_end1:
	.size	_Z6kernelIdEvPSt7complexIT_ES3_S3_8CalcKind, .Lfunc_end1-_Z6kernelIdEvPSt7complexIT_ES3_S3_8CalcKind
                                        ; -- End function
	.set _Z6kernelIdEvPSt7complexIT_ES3_S3_8CalcKind.num_vgpr, 43
	.set _Z6kernelIdEvPSt7complexIT_ES3_S3_8CalcKind.num_agpr, 0
	.set _Z6kernelIdEvPSt7complexIT_ES3_S3_8CalcKind.numbered_sgpr, 32
	.set _Z6kernelIdEvPSt7complexIT_ES3_S3_8CalcKind.num_named_barrier, 0
	.set _Z6kernelIdEvPSt7complexIT_ES3_S3_8CalcKind.private_seg_size, 0
	.set _Z6kernelIdEvPSt7complexIT_ES3_S3_8CalcKind.uses_vcc, 1
	.set _Z6kernelIdEvPSt7complexIT_ES3_S3_8CalcKind.uses_flat_scratch, 0
	.set _Z6kernelIdEvPSt7complexIT_ES3_S3_8CalcKind.has_dyn_sized_stack, 0
	.set _Z6kernelIdEvPSt7complexIT_ES3_S3_8CalcKind.has_recursion, 0
	.set _Z6kernelIdEvPSt7complexIT_ES3_S3_8CalcKind.has_indirect_call, 0
	.section	.AMDGPU.csdata,"",@progbits
; Kernel info:
; codeLenInByte = 10852
; TotalNumSgprs: 36
; NumVgprs: 43
; ScratchSize: 0
; MemoryBound: 0
; FloatMode: 240
; IeeeMode: 1
; LDSByteSize: 0 bytes/workgroup (compile time only)
; SGPRBlocks: 4
; VGPRBlocks: 10
; NumSGPRsForWavesPerEU: 36
; NumVGPRsForWavesPerEU: 43
; Occupancy: 5
; WaveLimiterHint : 0
; COMPUTE_PGM_RSRC2:SCRATCH_EN: 0
; COMPUTE_PGM_RSRC2:USER_SGPR: 6
; COMPUTE_PGM_RSRC2:TRAP_HANDLER: 0
; COMPUTE_PGM_RSRC2:TGID_X_EN: 1
; COMPUTE_PGM_RSRC2:TGID_Y_EN: 0
; COMPUTE_PGM_RSRC2:TGID_Z_EN: 0
; COMPUTE_PGM_RSRC2:TIDIG_COMP_CNT: 0
	.section	.AMDGPU.gpr_maximums,"",@progbits
	.set amdgpu.max_num_vgpr, 0
	.set amdgpu.max_num_agpr, 0
	.set amdgpu.max_num_sgpr, 0
	.section	.AMDGPU.csdata,"",@progbits
	.type	__hip_cuid_9db4d6cd210a2fd8,@object ; @__hip_cuid_9db4d6cd210a2fd8
	.section	.bss,"aw",@nobits
	.globl	__hip_cuid_9db4d6cd210a2fd8
__hip_cuid_9db4d6cd210a2fd8:
	.byte	0                               ; 0x0
	.size	__hip_cuid_9db4d6cd210a2fd8, 1

	.ident	"AMD clang version 22.0.0git (https://github.com/RadeonOpenCompute/llvm-project roc-7.2.4 26084 f58b06dce1f9c15707c5f808fd002e18c2accf7e)"
	.section	".note.GNU-stack","",@progbits
	.addrsig
	.addrsig_sym __hip_cuid_9db4d6cd210a2fd8
	.amdgpu_metadata
---
amdhsa.kernels:
  - .args:
      - .address_space:  global
        .offset:         0
        .size:           8
        .value_kind:     global_buffer
      - .address_space:  global
        .offset:         8
        .size:           8
        .value_kind:     global_buffer
      - .address_space:  global
        .offset:         16
        .size:           8
        .value_kind:     global_buffer
      - .offset:         24
        .size:           4
        .value_kind:     by_value
      - .offset:         32
        .size:           4
        .value_kind:     hidden_block_count_x
      - .offset:         36
        .size:           4
        .value_kind:     hidden_block_count_y
      - .offset:         40
        .size:           4
        .value_kind:     hidden_block_count_z
      - .offset:         44
        .size:           2
        .value_kind:     hidden_group_size_x
      - .offset:         46
        .size:           2
        .value_kind:     hidden_group_size_y
      - .offset:         48
        .size:           2
        .value_kind:     hidden_group_size_z
      - .offset:         50
        .size:           2
        .value_kind:     hidden_remainder_x
      - .offset:         52
        .size:           2
        .value_kind:     hidden_remainder_y
      - .offset:         54
        .size:           2
        .value_kind:     hidden_remainder_z
      - .offset:         72
        .size:           8
        .value_kind:     hidden_global_offset_x
      - .offset:         80
        .size:           8
        .value_kind:     hidden_global_offset_y
      - .offset:         88
        .size:           8
        .value_kind:     hidden_global_offset_z
      - .offset:         96
        .size:           2
        .value_kind:     hidden_grid_dims
    .group_segment_fixed_size: 0
    .kernarg_segment_align: 8
    .kernarg_segment_size: 288
    .language:       OpenCL C
    .language_version:
      - 2
      - 0
    .max_flat_workgroup_size: 1024
    .name:           _Z6kernelIfEvPSt7complexIT_ES3_S3_8CalcKind
    .private_segment_fixed_size: 0
    .sgpr_count:     24
    .sgpr_spill_count: 0
    .symbol:         _Z6kernelIfEvPSt7complexIT_ES3_S3_8CalcKind.kd
    .uniform_work_group_size: 1
    .uses_dynamic_stack: false
    .vgpr_count:     22
    .vgpr_spill_count: 0
    .wavefront_size: 64
  - .args:
      - .address_space:  global
        .offset:         0
        .size:           8
        .value_kind:     global_buffer
      - .address_space:  global
        .offset:         8
        .size:           8
        .value_kind:     global_buffer
      - .address_space:  global
        .offset:         16
        .size:           8
        .value_kind:     global_buffer
      - .offset:         24
        .size:           4
        .value_kind:     by_value
      - .offset:         32
        .size:           4
        .value_kind:     hidden_block_count_x
      - .offset:         36
        .size:           4
        .value_kind:     hidden_block_count_y
      - .offset:         40
        .size:           4
        .value_kind:     hidden_block_count_z
      - .offset:         44
        .size:           2
        .value_kind:     hidden_group_size_x
      - .offset:         46
        .size:           2
        .value_kind:     hidden_group_size_y
      - .offset:         48
        .size:           2
        .value_kind:     hidden_group_size_z
      - .offset:         50
        .size:           2
        .value_kind:     hidden_remainder_x
      - .offset:         52
        .size:           2
        .value_kind:     hidden_remainder_y
      - .offset:         54
        .size:           2
        .value_kind:     hidden_remainder_z
      - .offset:         72
        .size:           8
        .value_kind:     hidden_global_offset_x
      - .offset:         80
        .size:           8
        .value_kind:     hidden_global_offset_y
      - .offset:         88
        .size:           8
        .value_kind:     hidden_global_offset_z
      - .offset:         96
        .size:           2
        .value_kind:     hidden_grid_dims
    .group_segment_fixed_size: 0
    .kernarg_segment_align: 8
    .kernarg_segment_size: 288
    .language:       OpenCL C
    .language_version:
      - 2
      - 0
    .max_flat_workgroup_size: 1024
    .name:           _Z6kernelIdEvPSt7complexIT_ES3_S3_8CalcKind
    .private_segment_fixed_size: 0
    .sgpr_count:     36
    .sgpr_spill_count: 0
    .symbol:         _Z6kernelIdEvPSt7complexIT_ES3_S3_8CalcKind.kd
    .uniform_work_group_size: 1
    .uses_dynamic_stack: false
    .vgpr_count:     43
    .vgpr_spill_count: 0
    .wavefront_size: 64
amdhsa.target:   amdgcn-amd-amdhsa--gfx906
amdhsa.version:
  - 1
  - 2
...

	.end_amdgpu_metadata
